;; amdgpu-corpus repo=ROCm/rocFFT kind=compiled arch=gfx1030 opt=O3
	.text
	.amdgcn_target "amdgcn-amd-amdhsa--gfx1030"
	.amdhsa_code_object_version 6
	.protected	fft_rtc_back_len1020_factors_2_17_2_3_5_wgs_204_tpt_68_halfLds_dp_ip_CI_unitstride_sbrr_dirReg ; -- Begin function fft_rtc_back_len1020_factors_2_17_2_3_5_wgs_204_tpt_68_halfLds_dp_ip_CI_unitstride_sbrr_dirReg
	.globl	fft_rtc_back_len1020_factors_2_17_2_3_5_wgs_204_tpt_68_halfLds_dp_ip_CI_unitstride_sbrr_dirReg
	.p2align	8
	.type	fft_rtc_back_len1020_factors_2_17_2_3_5_wgs_204_tpt_68_halfLds_dp_ip_CI_unitstride_sbrr_dirReg,@function
fft_rtc_back_len1020_factors_2_17_2_3_5_wgs_204_tpt_68_halfLds_dp_ip_CI_unitstride_sbrr_dirReg: ; @fft_rtc_back_len1020_factors_2_17_2_3_5_wgs_204_tpt_68_halfLds_dp_ip_CI_unitstride_sbrr_dirReg
; %bb.0:
	s_load_dwordx4 s[8:11], s[4:5], 0x0
	v_mul_u32_u24_e32 v1, 0x3c4, v0
	s_clause 0x1
	s_load_dwordx2 s[2:3], s[4:5], 0x50
	s_load_dwordx2 s[12:13], s[4:5], 0x18
	v_mov_b32_e32 v6, 0
	v_mov_b32_e32 v7, 0
	v_lshrrev_b32_e32 v2, 16, v1
	v_mov_b32_e32 v1, 0
	v_mad_u64_u32 v[4:5], null, s6, 3, v[2:3]
	v_mov_b32_e32 v5, v1
	v_mov_b32_e32 v2, v4
	s_waitcnt lgkmcnt(0)
	v_cmp_lt_u64_e64 s0, s[10:11], 2
	v_mov_b32_e32 v3, v5
	s_and_b32 vcc_lo, exec_lo, s0
	s_cbranch_vccnz .LBB0_8
; %bb.1:
	s_load_dwordx2 s[0:1], s[4:5], 0x10
	v_mov_b32_e32 v6, 0
	v_mov_b32_e32 v9, v5
	s_add_u32 s6, s12, 8
	v_mov_b32_e32 v7, 0
	v_mov_b32_e32 v8, v4
	s_addc_u32 s7, s13, 0
	s_mov_b64 s[16:17], 1
	s_waitcnt lgkmcnt(0)
	s_add_u32 s14, s0, 8
	s_addc_u32 s15, s1, 0
.LBB0_2:                                ; =>This Inner Loop Header: Depth=1
	s_load_dwordx2 s[18:19], s[14:15], 0x0
	s_waitcnt lgkmcnt(0)
	v_or_b32_e32 v2, s19, v9
	v_cmp_ne_u64_e32 vcc_lo, 0, v[1:2]
                                        ; implicit-def: $vgpr2_vgpr3
	s_and_saveexec_b32 s0, vcc_lo
	s_xor_b32 s1, exec_lo, s0
	s_cbranch_execz .LBB0_4
; %bb.3:                                ;   in Loop: Header=BB0_2 Depth=1
	v_cvt_f32_u32_e32 v2, s18
	v_cvt_f32_u32_e32 v3, s19
	s_sub_u32 s0, 0, s18
	s_subb_u32 s20, 0, s19
	v_fmac_f32_e32 v2, 0x4f800000, v3
	v_rcp_f32_e32 v2, v2
	v_mul_f32_e32 v2, 0x5f7ffffc, v2
	v_mul_f32_e32 v3, 0x2f800000, v2
	v_trunc_f32_e32 v3, v3
	v_fmac_f32_e32 v2, 0xcf800000, v3
	v_cvt_u32_f32_e32 v3, v3
	v_cvt_u32_f32_e32 v2, v2
	v_mul_lo_u32 v5, s0, v3
	v_mul_hi_u32 v10, s0, v2
	v_mul_lo_u32 v11, s20, v2
	v_add_nc_u32_e32 v5, v10, v5
	v_mul_lo_u32 v10, s0, v2
	v_add_nc_u32_e32 v5, v5, v11
	v_mul_hi_u32 v11, v2, v10
	v_mul_lo_u32 v12, v2, v5
	v_mul_hi_u32 v13, v2, v5
	v_mul_hi_u32 v14, v3, v10
	v_mul_lo_u32 v10, v3, v10
	v_mul_hi_u32 v15, v3, v5
	v_mul_lo_u32 v5, v3, v5
	v_add_co_u32 v11, vcc_lo, v11, v12
	v_add_co_ci_u32_e32 v12, vcc_lo, 0, v13, vcc_lo
	v_add_co_u32 v10, vcc_lo, v11, v10
	v_add_co_ci_u32_e32 v10, vcc_lo, v12, v14, vcc_lo
	v_add_co_ci_u32_e32 v11, vcc_lo, 0, v15, vcc_lo
	v_add_co_u32 v5, vcc_lo, v10, v5
	v_add_co_ci_u32_e32 v10, vcc_lo, 0, v11, vcc_lo
	v_add_co_u32 v2, vcc_lo, v2, v5
	v_add_co_ci_u32_e32 v3, vcc_lo, v3, v10, vcc_lo
	v_mul_hi_u32 v5, s0, v2
	v_mul_lo_u32 v11, s20, v2
	v_mul_lo_u32 v10, s0, v3
	v_add_nc_u32_e32 v5, v5, v10
	v_mul_lo_u32 v10, s0, v2
	v_add_nc_u32_e32 v5, v5, v11
	v_mul_hi_u32 v11, v2, v10
	v_mul_lo_u32 v12, v2, v5
	v_mul_hi_u32 v13, v2, v5
	v_mul_hi_u32 v14, v3, v10
	v_mul_lo_u32 v10, v3, v10
	v_mul_hi_u32 v15, v3, v5
	v_mul_lo_u32 v5, v3, v5
	v_add_co_u32 v11, vcc_lo, v11, v12
	v_add_co_ci_u32_e32 v12, vcc_lo, 0, v13, vcc_lo
	v_add_co_u32 v10, vcc_lo, v11, v10
	v_add_co_ci_u32_e32 v10, vcc_lo, v12, v14, vcc_lo
	v_add_co_ci_u32_e32 v11, vcc_lo, 0, v15, vcc_lo
	v_add_co_u32 v5, vcc_lo, v10, v5
	v_add_co_ci_u32_e32 v10, vcc_lo, 0, v11, vcc_lo
	v_add_co_u32 v5, vcc_lo, v2, v5
	v_add_co_ci_u32_e32 v12, vcc_lo, v3, v10, vcc_lo
	v_mul_hi_u32 v14, v8, v5
	v_mad_u64_u32 v[10:11], null, v9, v5, 0
	v_mad_u64_u32 v[2:3], null, v8, v12, 0
	v_mad_u64_u32 v[12:13], null, v9, v12, 0
	v_add_co_u32 v2, vcc_lo, v14, v2
	v_add_co_ci_u32_e32 v3, vcc_lo, 0, v3, vcc_lo
	v_add_co_u32 v2, vcc_lo, v2, v10
	v_add_co_ci_u32_e32 v2, vcc_lo, v3, v11, vcc_lo
	v_add_co_ci_u32_e32 v3, vcc_lo, 0, v13, vcc_lo
	v_add_co_u32 v5, vcc_lo, v2, v12
	v_add_co_ci_u32_e32 v10, vcc_lo, 0, v3, vcc_lo
	v_mul_lo_u32 v11, s19, v5
	v_mad_u64_u32 v[2:3], null, s18, v5, 0
	v_mul_lo_u32 v12, s18, v10
	v_sub_co_u32 v2, vcc_lo, v8, v2
	v_add3_u32 v3, v3, v12, v11
	v_sub_nc_u32_e32 v11, v9, v3
	v_subrev_co_ci_u32_e64 v11, s0, s19, v11, vcc_lo
	v_add_co_u32 v12, s0, v5, 2
	v_add_co_ci_u32_e64 v13, s0, 0, v10, s0
	v_sub_co_u32 v14, s0, v2, s18
	v_sub_co_ci_u32_e32 v3, vcc_lo, v9, v3, vcc_lo
	v_subrev_co_ci_u32_e64 v11, s0, 0, v11, s0
	v_cmp_le_u32_e32 vcc_lo, s18, v14
	v_cmp_eq_u32_e64 s0, s19, v3
	v_cndmask_b32_e64 v14, 0, -1, vcc_lo
	v_cmp_le_u32_e32 vcc_lo, s19, v11
	v_cndmask_b32_e64 v15, 0, -1, vcc_lo
	v_cmp_le_u32_e32 vcc_lo, s18, v2
	;; [unrolled: 2-line block ×3, first 2 shown]
	v_cndmask_b32_e64 v16, 0, -1, vcc_lo
	v_cmp_eq_u32_e32 vcc_lo, s19, v11
	v_cndmask_b32_e64 v2, v16, v2, s0
	v_cndmask_b32_e32 v11, v15, v14, vcc_lo
	v_add_co_u32 v14, vcc_lo, v5, 1
	v_add_co_ci_u32_e32 v15, vcc_lo, 0, v10, vcc_lo
	v_cmp_ne_u32_e32 vcc_lo, 0, v11
	v_cndmask_b32_e32 v3, v15, v13, vcc_lo
	v_cndmask_b32_e32 v11, v14, v12, vcc_lo
	v_cmp_ne_u32_e32 vcc_lo, 0, v2
	v_cndmask_b32_e32 v3, v10, v3, vcc_lo
	v_cndmask_b32_e32 v2, v5, v11, vcc_lo
.LBB0_4:                                ;   in Loop: Header=BB0_2 Depth=1
	s_andn2_saveexec_b32 s0, s1
	s_cbranch_execz .LBB0_6
; %bb.5:                                ;   in Loop: Header=BB0_2 Depth=1
	v_cvt_f32_u32_e32 v2, s18
	s_sub_i32 s1, 0, s18
	v_rcp_iflag_f32_e32 v2, v2
	v_mul_f32_e32 v2, 0x4f7ffffe, v2
	v_cvt_u32_f32_e32 v2, v2
	v_mul_lo_u32 v3, s1, v2
	v_mul_hi_u32 v3, v2, v3
	v_add_nc_u32_e32 v2, v2, v3
	v_mul_hi_u32 v2, v8, v2
	v_mul_lo_u32 v3, v2, s18
	v_add_nc_u32_e32 v5, 1, v2
	v_sub_nc_u32_e32 v3, v8, v3
	v_subrev_nc_u32_e32 v10, s18, v3
	v_cmp_le_u32_e32 vcc_lo, s18, v3
	v_cndmask_b32_e32 v3, v3, v10, vcc_lo
	v_cndmask_b32_e32 v2, v2, v5, vcc_lo
	v_cmp_le_u32_e32 vcc_lo, s18, v3
	v_add_nc_u32_e32 v5, 1, v2
	v_mov_b32_e32 v3, v1
	v_cndmask_b32_e32 v2, v2, v5, vcc_lo
.LBB0_6:                                ;   in Loop: Header=BB0_2 Depth=1
	s_or_b32 exec_lo, exec_lo, s0
	s_load_dwordx2 s[0:1], s[6:7], 0x0
	v_mul_lo_u32 v5, v3, s18
	v_mul_lo_u32 v12, v2, s19
	v_mad_u64_u32 v[10:11], null, v2, s18, 0
	s_add_u32 s16, s16, 1
	s_addc_u32 s17, s17, 0
	s_add_u32 s6, s6, 8
	s_addc_u32 s7, s7, 0
	;; [unrolled: 2-line block ×3, first 2 shown]
	v_add3_u32 v5, v11, v12, v5
	v_sub_co_u32 v8, vcc_lo, v8, v10
	v_sub_co_ci_u32_e32 v5, vcc_lo, v9, v5, vcc_lo
	s_waitcnt lgkmcnt(0)
	v_mul_lo_u32 v9, s1, v8
	v_mul_lo_u32 v5, s0, v5
	v_mad_u64_u32 v[6:7], null, s0, v8, v[6:7]
	v_cmp_ge_u64_e64 s0, s[16:17], s[10:11]
	s_and_b32 vcc_lo, exec_lo, s0
	v_add3_u32 v7, v9, v7, v5
	s_cbranch_vccnz .LBB0_8
; %bb.7:                                ;   in Loop: Header=BB0_2 Depth=1
	v_mov_b32_e32 v9, v3
	v_mov_b32_e32 v8, v2
	s_branch .LBB0_2
.LBB0_8:
	s_lshl_b64 s[0:1], s[10:11], 3
                                        ; implicit-def: $vgpr86_vgpr87
                                        ; implicit-def: $vgpr70_vgpr71
                                        ; implicit-def: $vgpr82_vgpr83
                                        ; implicit-def: $vgpr62_vgpr63
                                        ; implicit-def: $vgpr94_vgpr95
                                        ; implicit-def: $vgpr66_vgpr67
                                        ; implicit-def: $vgpr90_vgpr91
                                        ; implicit-def: $vgpr54_vgpr55
                                        ; implicit-def: $vgpr74_vgpr75
                                        ; implicit-def: $vgpr58_vgpr59
                                        ; implicit-def: $vgpr78_vgpr79
                                        ; implicit-def: $vgpr40_vgpr41
                                        ; implicit-def: $vgpr36_vgpr37
                                        ; implicit-def: $vgpr44_vgpr45
                                        ; implicit-def: $vgpr48_vgpr49
	s_add_u32 s0, s12, s0
	s_addc_u32 s1, s13, s1
	s_load_dwordx2 s[0:1], s[0:1], 0x0
	s_load_dwordx2 s[4:5], s[4:5], 0x20
	s_waitcnt lgkmcnt(0)
	v_mul_lo_u32 v1, s0, v3
	v_mul_lo_u32 v8, s1, v2
	v_mad_u64_u32 v[5:6], null, s0, v2, v[6:7]
	v_mul_hi_u32 v7, 0x3c3c3c4, v0
	v_cmp_gt_u64_e32 vcc_lo, s[4:5], v[2:3]
                                        ; implicit-def: $vgpr2_vgpr3
	v_add3_u32 v6, v8, v6, v1
	v_mul_u32_u24_e32 v1, 0x44, v7
	v_lshlrev_b64 v[98:99], 4, v[5:6]
	v_sub_nc_u32_e32 v96, v0, v1
	s_and_saveexec_b32 s1, vcc_lo
	s_cbranch_execz .LBB0_12
; %bb.9:
	v_mov_b32_e32 v97, 0
	v_add_co_u32 v2, s0, s2, v98
	v_add_co_ci_u32_e64 v3, s0, s3, v99, s0
	v_lshlrev_b64 v[0:1], 4, v[96:97]
	s_mov_b32 s4, exec_lo
                                        ; implicit-def: $vgpr68_vgpr69
                                        ; implicit-def: $vgpr84_vgpr85
	v_add_co_u32 v0, s0, v2, v0
	v_add_co_ci_u32_e64 v1, s0, v3, v1, s0
	v_add_co_u32 v2, s0, 0x2000, v0
	v_add_co_ci_u32_e64 v3, s0, 0, v1, s0
	;; [unrolled: 2-line block ×4, first 2 shown]
	s_clause 0x3
	global_load_dwordx4 v[46:49], v[0:1], off
	global_load_dwordx4 v[42:45], v[0:1], off offset:1088
	global_load_dwordx4 v[34:37], v[2:3], off offset:1056
	;; [unrolled: 1-line block ×3, first 2 shown]
	v_add_co_u32 v2, s0, 0x2800, v0
	v_add_co_ci_u32_e64 v3, s0, 0, v1, s0
	v_add_co_u32 v9, s0, 0x1000, v0
	v_add_co_ci_u32_e64 v10, s0, 0, v1, s0
	;; [unrolled: 2-line block ×3, first 2 shown]
	s_clause 0x3
	global_load_dwordx4 v[76:79], v[2:3], off offset:96
	global_load_dwordx4 v[56:59], v[7:8], off offset:1216
	;; [unrolled: 1-line block ×4, first 2 shown]
	v_add_co_u32 v7, s0, 0x3800, v0
	v_add_co_ci_u32_e64 v8, s0, 0, v1, s0
	s_clause 0x5
	global_load_dwordx4 v[88:91], v[11:12], off offset:224
	global_load_dwordx4 v[64:67], v[9:10], off offset:1344
	global_load_dwordx4 v[0:3], v[5:6], off offset:2016
	global_load_dwordx4 v[60:63], v[5:6], off offset:384
	global_load_dwordx4 v[92:95], v[11:12], off offset:1312
	global_load_dwordx4 v[80:83], v[7:8], off offset:352
	v_cmpx_gt_u32_e32 34, v96
; %bb.10:
	s_clause 0x1
	global_load_dwordx4 v[68:71], v[5:6], off offset:1472
	global_load_dwordx4 v[84:87], v[7:8], off offset:1440
; %bb.11:
	s_or_b32 exec_lo, exec_lo, s4
.LBB0_12:
	s_or_b32 exec_lo, exec_lo, s1
	s_waitcnt vmcnt(3)
	v_add_f64 v[6:7], v[46:47], -v[0:1]
	v_add_f64 v[30:31], v[42:43], -v[34:35]
	;; [unrolled: 1-line block ×5, first 2 shown]
	s_waitcnt vmcnt(1)
	v_add_f64 v[18:19], v[64:65], -v[92:93]
	s_waitcnt vmcnt(0)
	v_add_f64 v[26:27], v[60:61], -v[80:81]
	v_add_f64 v[34:35], v[68:69], -v[84:85]
	v_mul_hi_u32 v0, 0xaaaaaaab, v4
	v_add_nc_u32_e32 v213, 0x44, v96
	v_add_nc_u32_e32 v212, 0x88, v96
	;; [unrolled: 1-line block ×6, first 2 shown]
	v_lshlrev_b32_e32 v1, 4, v96
	v_lshrrev_b32_e32 v0, 1, v0
	v_add_nc_u32_e32 v216, 0x1dc, v96
	v_lshlrev_b32_e32 v50, 4, v213
	v_cmp_gt_u32_e64 s0, 34, v96
	v_lshl_add_u32 v0, v0, 1, v0
	v_fma_f64 v[28:29], v[42:43], 2.0, -v[30:31]
	v_fma_f64 v[20:21], v[38:39], 2.0, -v[22:23]
	;; [unrolled: 1-line block ×3, first 2 shown]
	v_sub_nc_u32_e32 v0, v4, v0
	v_fma_f64 v[4:5], v[46:47], 2.0, -v[6:7]
	v_fma_f64 v[8:9], v[52:53], 2.0, -v[10:11]
	;; [unrolled: 1-line block ×5, first 2 shown]
	v_mul_u32_u24_e32 v0, 0x3fc, v0
	v_lshlrev_b32_e32 v38, 4, v212
	v_lshlrev_b32_e32 v39, 4, v215
	;; [unrolled: 1-line block ×7, first 2 shown]
	v_add3_u32 v81, 0, v1, v97
	v_add3_u32 v80, 0, v50, v97
	;; [unrolled: 1-line block ×7, first 2 shown]
	ds_write_b128 v81, v[4:7]
	ds_write_b128 v80, v[28:31]
	ds_write_b128 v73, v[20:23]
	ds_write_b128 v72, v[12:15]
	ds_write_b128 v69, v[8:11]
	ds_write_b128 v68, v[16:19]
	ds_write_b128 v65, v[24:27]
	s_and_saveexec_b32 s1, s0
	s_cbranch_execz .LBB0_14
; %bb.13:
	v_add3_u32 v0, 0, v64, v97
	ds_write_b128 v0, v[32:35]
.LBB0_14:
	s_or_b32 exec_lo, exec_lo, s1
	v_cmp_gt_u32_e64 s1, 60, v96
	v_lshlrev_b32_e32 v221, 3, v96
	s_waitcnt lgkmcnt(0)
	s_barrier
	buffer_gl0_inv
                                        ; implicit-def: $vgpr52_vgpr53
	s_and_saveexec_b32 s4, s1
	s_cbranch_execz .LBB0_16
; %bb.15:
	v_add3_u32 v0, 0, v221, v97
	v_add_nc_u32_e32 v1, 0x1800, v0
	v_add_nc_u32_e32 v4, 0x1000, v0
	ds_read2_b64 v[6:9], v0 offset0:180 offset1:240
	ds_read2_b64 v[100:103], v0 offset0:60 offset1:120
	;; [unrolled: 1-line block ×4, first 2 shown]
	v_add_nc_u32_e32 v0, 0x800, v0
	ds_read2_b64 v[14:17], v4 offset0:148 offset1:208
	ds_read2_b64 v[104:107], v4 offset0:28 offset1:88
	;; [unrolled: 1-line block ×4, first 2 shown]
	v_add3_u32 v0, 0, v97, v221
	ds_read_b64 v[4:5], v0
	s_waitcnt lgkmcnt(8)
	v_mov_b32_e32 v21, v9
	v_mov_b32_e32 v31, v7
	s_waitcnt lgkmcnt(5)
	v_mov_b32_e32 v33, v13
	v_mov_b32_e32 v27, v11
	;; [unrolled: 3-line block ×3, first 2 shown]
	v_mov_b32_e32 v20, v8
	v_mov_b32_e32 v30, v6
	;; [unrolled: 1-line block ×8, first 2 shown]
	s_waitcnt lgkmcnt(3)
	v_mov_b32_e32 v16, v106
	v_mov_b32_e32 v10, v104
	s_waitcnt lgkmcnt(2)
	v_mov_b32_e32 v8, v110
	v_mov_b32_e32 v14, v108
	;; [unrolled: 3-line block ×3, first 2 shown]
	v_mov_b32_e32 v6, v100
	v_mov_b32_e32 v29, v103
	;; [unrolled: 1-line block ×10, first 2 shown]
.LBB0_16:
	s_or_b32 exec_lo, exec_lo, s4
	v_add_f64 v[2:3], v[48:49], -v[2:3]
	v_add_f64 v[76:77], v[44:45], -v[36:37]
	;; [unrolled: 1-line block ×8, first 2 shown]
	s_waitcnt lgkmcnt(0)
	s_barrier
	buffer_gl0_inv
	v_fma_f64 v[0:1], v[48:49], 2.0, -v[2:3]
	v_fma_f64 v[74:75], v[44:45], 2.0, -v[76:77]
	;; [unrolled: 1-line block ×8, first 2 shown]
	ds_write_b128 v81, v[0:3]
	ds_write_b128 v80, v[74:77]
	;; [unrolled: 1-line block ×7, first 2 shown]
	s_and_saveexec_b32 s4, s0
	s_cbranch_execz .LBB0_18
; %bb.17:
	v_add3_u32 v62, 0, v64, v97
	ds_write_b128 v62, v[58:61]
.LBB0_18:
	s_or_b32 exec_lo, exec_lo, s4
	s_waitcnt lgkmcnt(0)
	s_barrier
	buffer_gl0_inv
                                        ; implicit-def: $vgpr62_vgpr63
	s_and_saveexec_b32 s4, s1
	s_cbranch_execz .LBB0_20
; %bb.19:
	v_add3_u32 v0, 0, v221, v97
	v_add_nc_u32_e32 v1, 0x1800, v0
	v_add_nc_u32_e32 v2, 0x1000, v0
	ds_read2_b64 v[36:39], v0 offset0:180 offset1:240
	ds_read2_b64 v[64:67], v0 offset0:60 offset1:120
	;; [unrolled: 1-line block ×4, first 2 shown]
	v_add_nc_u32_e32 v0, 0x800, v0
	ds_read2_b64 v[44:47], v2 offset0:148 offset1:208
	ds_read2_b64 v[68:71], v2 offset0:28 offset1:88
	;; [unrolled: 1-line block ×4, first 2 shown]
	v_add3_u32 v0, 0, v97, v221
	ds_read_b64 v[0:1], v0
	s_waitcnt lgkmcnt(8)
	v_mov_b32_e32 v49, v39
	v_mov_b32_e32 v77, v37
	s_waitcnt lgkmcnt(5)
	v_mov_b32_e32 v59, v43
	s_waitcnt lgkmcnt(4)
	v_mov_b32_e32 v55, v47
	v_mov_b32_e32 v57, v41
	v_mov_b32_e32 v54, v46
	v_mov_b32_e32 v47, v45
	v_mov_b32_e32 v48, v38
	v_mov_b32_e32 v76, v36
	v_mov_b32_e32 v75, v67
	v_mov_b32_e32 v58, v42
	v_mov_b32_e32 v56, v40
	v_mov_b32_e32 v46, v44
	s_waitcnt lgkmcnt(3)
	v_mov_b32_e32 v44, v70
	v_mov_b32_e32 v38, v68
	s_waitcnt lgkmcnt(2)
	v_mov_b32_e32 v36, v80
	v_mov_b32_e32 v42, v78
	;; [unrolled: 3-line block ×3, first 2 shown]
	v_mov_b32_e32 v2, v64
	v_mov_b32_e32 v74, v66
	;; [unrolled: 1-line block ×9, first 2 shown]
.LBB0_20:
	s_or_b32 exec_lo, exec_lo, s4
	v_and_b32_e32 v219, 1, v96
	s_mov_b32 s20, 0x2a9d6da3
	s_mov_b32 s44, 0x7c9e640b
	;; [unrolled: 1-line block ×4, first 2 shown]
	v_lshlrev_b32_e32 v64, 8, v219
	s_mov_b32 s6, 0x75d4884
	s_mov_b32 s46, 0xeb564b22
	;; [unrolled: 1-line block ×4, first 2 shown]
	s_clause 0xf
	global_load_dwordx4 v[68:71], v64, s[8:9] offset:240
	global_load_dwordx4 v[78:81], v64, s[8:9]
	global_load_dwordx4 v[82:85], v64, s[8:9] offset:16
	global_load_dwordx4 v[86:89], v64, s[8:9] offset:224
	;; [unrolled: 1-line block ×14, first 2 shown]
	s_mov_b32 s7, 0x3fe7a5f6
	s_mov_b32 s47, 0xbfefdd0d
	;; [unrolled: 1-line block ×32, first 2 shown]
	v_lshrrev_b32_e32 v220, 1, v96
	s_waitcnt vmcnt(0) lgkmcnt(0)
	s_barrier
	buffer_gl0_inv
	v_mul_f64 v[64:65], v[52:53], v[70:71]
	v_mul_f64 v[66:67], v[6:7], v[80:81]
	;; [unrolled: 1-line block ×9, first 2 shown]
	v_fma_f64 v[62:63], v[62:63], v[68:69], -v[64:65]
	v_fma_f64 v[64:65], v[2:3], v[78:79], -v[66:67]
	v_mul_f64 v[2:3], v[74:75], v[84:85]
	v_mul_f64 v[84:85], v[30:31], v[92:93]
	v_fma_f64 v[66:67], v[74:75], v[82:83], -v[72:73]
	v_fma_f64 v[68:69], v[52:53], v[68:69], v[70:71]
	v_fma_f64 v[52:53], v[60:61], v[86:87], -v[94:95]
	v_fma_f64 v[70:71], v[6:7], v[78:79], v[80:81]
	v_mul_f64 v[6:7], v[76:77], v[92:93]
	v_mul_f64 v[72:73], v[20:21], v[106:107]
	v_mul_f64 v[78:79], v[26:27], v[118:119]
	v_mul_f64 v[80:81], v[58:59], v[102:103]
	v_fma_f64 v[58:59], v[58:59], v[100:101], -v[110:111]
	v_mul_f64 v[92:93], v[18:19], v[138:139]
	v_mul_f64 v[94:95], v[54:55], v[126:127]
	v_add_f64 v[88:89], v[64:65], -v[62:63]
	v_fma_f64 v[74:75], v[28:29], v[82:83], v[2:3]
	v_fma_f64 v[60:61], v[76:77], v[90:91], -v[84:85]
	v_fma_f64 v[76:77], v[34:35], v[86:87], v[108:109]
	v_mul_f64 v[2:3], v[48:49], v[106:107]
	v_add_f64 v[108:109], v[66:67], -v[52:53]
	v_add_f64 v[102:103], v[70:71], v[68:69]
	v_mul_f64 v[82:83], v[22:23], v[122:123]
	v_mul_f64 v[84:85], v[24:25], v[126:127]
	;; [unrolled: 1-line block ×3, first 2 shown]
	v_fma_f64 v[28:29], v[30:31], v[90:91], v[6:7]
	v_fma_f64 v[34:35], v[48:49], v[104:105], -v[72:73]
	v_fma_f64 v[72:73], v[32:33], v[100:101], v[80:81]
	v_fma_f64 v[30:31], v[56:57], v[116:117], -v[78:79]
	v_mul_f64 v[80:81], v[50:51], v[122:123]
	v_mul_f64 v[90:91], v[12:13], v[134:135]
	;; [unrolled: 1-line block ×6, first 2 shown]
	v_add_f64 v[176:177], v[60:61], -v[58:59]
	v_add_f64 v[114:115], v[74:75], v[76:77]
	v_fma_f64 v[56:57], v[20:21], v[104:105], v[2:3]
	v_mul_f64 v[130:131], v[108:109], s[46:47]
	v_mul_f64 v[118:119], v[108:109], s[24:25]
	v_fma_f64 v[48:49], v[50:51], v[120:121], -v[82:83]
	v_fma_f64 v[32:33], v[54:55], v[124:125], -v[84:85]
	v_fma_f64 v[50:51], v[26:27], v[116:117], v[86:87]
	v_mul_f64 v[84:85], v[40:41], v[134:135]
	v_mul_f64 v[86:87], v[14:15], v[142:143]
	v_add_f64 v[106:107], v[28:29], v[72:73]
	v_add_f64 v[204:205], v[34:35], -v[30:31]
	v_mul_f64 v[104:105], v[46:47], v[138:139]
	v_fma_f64 v[54:55], v[22:23], v[120:121], v[80:81]
	v_fma_f64 v[40:41], v[40:41], v[132:133], -v[90:91]
	v_fma_f64 v[26:27], v[46:47], v[136:137], -v[92:93]
	v_mul_f64 v[134:135], v[44:45], v[146:147]
	v_fma_f64 v[6:7], v[102:103], s[6:7], -v[110:111]
	v_fma_f64 v[78:79], v[102:103], s[14:15], -v[112:113]
	v_mul_f64 v[172:173], v[176:177], s[24:25]
	v_mul_f64 v[162:163], v[176:177], s[26:27]
	s_mov_b32 s27, 0xbfc7851a
	v_fma_f64 v[2:3], v[114:115], s[4:5], -v[130:131]
	v_fma_f64 v[20:21], v[114:115], s[10:11], -v[118:119]
	v_add_f64 v[190:191], v[48:49], -v[32:33]
	v_add_f64 v[116:117], v[56:57], v[50:51]
	v_fma_f64 v[80:81], v[12:13], v[132:133], v[84:85]
	v_fma_f64 v[46:47], v[42:43], v[140:141], -v[86:87]
	v_mul_f64 v[22:23], v[204:205], s[40:41]
	v_mul_f64 v[120:121], v[204:205], s[26:27]
	v_fma_f64 v[92:93], v[18:19], v[136:137], v[104:105]
	v_mul_f64 v[104:105], v[38:39], v[154:155]
	v_fma_f64 v[38:39], v[38:39], v[152:153], -v[128:129]
	v_add_f64 v[6:7], v[4:5], v[6:7]
	v_add_f64 v[82:83], v[4:5], v[78:79]
	v_fma_f64 v[78:79], v[24:25], v[124:125], v[94:95]
	v_fma_f64 v[90:91], v[106:107], s[10:11], -v[172:173]
	v_fma_f64 v[94:95], v[106:107], s[12:13], -v[162:163]
	v_mul_f64 v[124:125], v[190:191], s[42:43]
	v_mul_f64 v[24:25], v[190:191], s[28:29]
	v_fma_f64 v[12:13], v[116:117], s[16:17], -v[22:23]
	v_fma_f64 v[84:85], v[116:117], s[12:13], -v[120:121]
	v_add_f64 v[2:3], v[2:3], v[6:7]
	v_add_f64 v[6:7], v[20:21], v[82:83]
	v_mul_f64 v[82:83], v[42:43], v[142:143]
	v_fma_f64 v[42:43], v[44:45], v[144:145], -v[100:101]
	v_add_f64 v[122:123], v[54:55], v[78:79]
	v_add_f64 v[20:21], v[40:41], -v[26:27]
	v_add_f64 v[100:101], v[90:91], v[2:3]
	v_add_f64 v[6:7], v[94:95], v[6:7]
	v_mul_f64 v[94:95], v[36:37], v[150:151]
	v_fma_f64 v[44:45], v[14:15], v[140:141], v[82:83]
	v_fma_f64 v[36:37], v[36:37], v[148:149], -v[126:127]
	v_fma_f64 v[90:91], v[16:17], v[144:145], v[134:135]
	v_add_f64 v[2:3], v[80:81], v[92:93]
	v_add_f64 v[86:87], v[46:47], -v[42:43]
	v_mul_f64 v[210:211], v[20:21], s[40:41]
	v_mul_f64 v[18:19], v[20:21], s[30:31]
	v_fma_f64 v[14:15], v[122:123], s[18:19], -v[124:125]
	v_fma_f64 v[82:83], v[122:123], s[6:7], -v[24:25]
	v_add_f64 v[84:85], v[84:85], v[100:101]
	v_add_f64 v[126:127], v[12:13], v[6:7]
	v_fma_f64 v[94:95], v[8:9], v[148:149], v[94:95]
	v_fma_f64 v[100:101], v[10:11], v[152:153], v[104:105]
	v_add_f64 v[104:105], v[36:37], -v[38:39]
	v_add_f64 v[6:7], v[44:45], v[90:91]
	v_mul_f64 v[12:13], v[86:87], s[34:35]
	v_mul_f64 v[16:17], v[86:87], s[46:47]
	v_fma_f64 v[128:129], v[2:3], s[16:17], -v[210:211]
	v_fma_f64 v[132:133], v[2:3], s[22:23], -v[18:19]
	v_add_f64 v[84:85], v[14:15], v[84:85]
	v_add_f64 v[82:83], v[82:83], v[126:127]
	;; [unrolled: 1-line block ×3, first 2 shown]
	v_mul_f64 v[10:11], v[104:105], s[48:49]
	v_mul_f64 v[14:15], v[104:105], s[36:37]
	v_fma_f64 v[126:127], v[6:7], s[14:15], -v[12:13]
	v_fma_f64 v[134:135], v[6:7], s[4:5], -v[16:17]
	v_add_f64 v[84:85], v[128:129], v[84:85]
	v_add_f64 v[82:83], v[132:133], v[82:83]
	v_fma_f64 v[128:129], v[8:9], s[22:23], -v[10:11]
	v_fma_f64 v[132:133], v[8:9], s[18:19], -v[14:15]
	v_add_f64 v[84:85], v[126:127], v[84:85]
	v_add_f64 v[126:127], v[134:135], v[82:83]
	v_add_f64 v[82:83], v[128:129], v[84:85]
	v_add_f64 v[84:85], v[132:133], v[126:127]
	s_and_saveexec_b32 s33, s1
	s_cbranch_execz .LBB0_22
; %bb.21:
	v_mul_f64 v[128:129], v[88:89], s[36:37]
	v_mul_f64 v[132:133], v[88:89], s[24:25]
	;; [unrolled: 1-line block ×3, first 2 shown]
	s_mov_b32 s39, 0xbfeec746
	s_mov_b32 s38, s40
	v_mul_f64 v[126:127], v[88:89], s[26:27]
	v_mul_f64 v[138:139], v[108:109], s[34:35]
	;; [unrolled: 1-line block ×12, first 2 shown]
	s_mov_b32 s41, 0x3fe9895b
	s_mov_b32 s40, s24
	v_mul_f64 v[164:165], v[108:109], s[42:43]
	v_mul_f64 v[168:169], v[176:177], s[46:47]
	;; [unrolled: 1-line block ×3, first 2 shown]
	v_fma_f64 v[156:157], v[102:103], s[18:19], -v[128:129]
	v_fma_f64 v[128:129], v[102:103], s[18:19], v[128:129]
	v_fma_f64 v[158:159], v[102:103], s[10:11], -v[132:133]
	v_fma_f64 v[132:133], v[102:103], s[10:11], v[132:133]
	v_fma_f64 v[160:161], v[102:103], s[4:5], -v[134:135]
	v_fma_f64 v[152:153], v[102:103], s[12:13], -v[126:127]
	;; [unrolled: 1-line block ×3, first 2 shown]
	v_fma_f64 v[138:139], v[114:115], s[14:15], v[138:139]
	v_fma_f64 v[192:193], v[114:115], s[16:17], -v[142:143]
	v_fma_f64 v[142:143], v[114:115], s[16:17], v[142:143]
	v_fma_f64 v[194:195], v[114:115], s[12:13], -v[154:155]
	v_fma_f64 v[208:209], v[102:103], s[16:17], v[150:151]
	v_fma_f64 v[126:127], v[102:103], s[12:13], v[126:127]
	v_fma_f64 v[184:185], v[114:115], s[22:23], -v[136:137]
	v_fma_f64 v[186:187], v[114:115], s[22:23], v[136:137]
	v_fma_f64 v[182:183], v[102:103], s[16:17], -v[150:151]
	v_add_f64 v[222:223], v[140:141], v[118:119]
	v_fma_f64 v[118:119], v[102:103], s[4:5], v[134:135]
	v_add_f64 v[112:113], v[146:147], v[112:113]
	v_add_f64 v[224:225], v[144:145], v[110:111]
	v_fma_f64 v[136:137], v[106:107], s[22:23], -v[170:171]
	v_mul_f64 v[206:207], v[204:205], s[40:41]
	v_add_f64 v[156:157], v[4:5], v[156:157]
	v_add_f64 v[128:129], v[4:5], v[128:129]
	v_add_f64 v[198:199], v[4:5], v[158:159]
	v_add_f64 v[132:133], v[4:5], v[132:133]
	v_add_f64 v[200:201], v[4:5], v[160:161]
	v_add_f64 v[196:197], v[4:5], v[152:153]
	v_mul_f64 v[174:175], v[204:205], s[36:37]
	v_mul_f64 v[166:167], v[204:205], s[28:29]
	v_fma_f64 v[178:179], v[114:115], s[18:19], -v[164:165]
	v_fma_f64 v[144:145], v[106:107], s[4:5], -v[168:169]
	v_fma_f64 v[140:141], v[106:107], s[4:5], v[168:169]
	v_fma_f64 v[168:169], v[114:115], s[18:19], v[164:165]
	v_add_f64 v[126:127], v[4:5], v[126:127]
	v_fma_f64 v[164:165], v[114:115], s[12:13], v[154:155]
	v_mul_f64 v[148:149], v[176:177], s[36:37]
	v_add_f64 v[182:183], v[4:5], v[182:183]
	s_mov_b32 s43, 0x3fefdd0d
	s_mov_b32 s42, s46
	v_mul_f64 v[228:229], v[190:191], s[24:25]
	v_add_f64 v[224:225], v[4:5], v[224:225]
	v_mul_f64 v[234:235], v[2:3], s[16:17]
	v_fma_f64 v[154:155], v[106:107], s[16:17], -v[180:181]
	v_add_f64 v[156:157], v[188:189], v[156:157]
	v_add_f64 v[150:151], v[138:139], v[128:129]
	v_add_f64 v[188:189], v[4:5], v[118:119]
	v_add_f64 v[138:139], v[142:143], v[132:133]
	v_add_f64 v[134:135], v[194:195], v[200:201]
	v_fma_f64 v[142:143], v[106:107], s[22:23], v[170:171]
	v_add_f64 v[170:171], v[4:5], v[208:209]
	v_fma_f64 v[194:195], v[102:103], s[22:23], -v[88:89]
	v_mul_f64 v[208:209], v[6:7], s[4:5]
	v_fma_f64 v[102:103], v[102:103], s[22:23], v[88:89]
	v_add_f64 v[160:161], v[184:185], v[196:197]
	v_add_f64 v[196:197], v[4:5], v[112:113]
	;; [unrolled: 1-line block ×3, first 2 shown]
	v_mul_f64 v[186:187], v[114:115], s[4:5]
	v_add_f64 v[146:147], v[192:193], v[198:199]
	v_mul_f64 v[192:193], v[106:107], s[12:13]
	v_mul_f64 v[198:199], v[108:109], s[20:21]
	;; [unrolled: 1-line block ×3, first 2 shown]
	v_fma_f64 v[118:119], v[116:117], s[10:11], -v[206:207]
	v_fma_f64 v[112:113], v[116:117], s[10:11], v[206:207]
	v_fma_f64 v[132:133], v[106:107], s[6:7], -v[202:203]
	v_mul_f64 v[206:207], v[106:107], s[10:11]
	v_fma_f64 v[110:111], v[116:117], s[18:19], -v[174:175]
	v_fma_f64 v[108:109], v[116:117], s[18:19], v[174:175]
	v_mul_f64 v[174:175], v[2:3], s[22:23]
	v_fma_f64 v[128:129], v[116:117], s[6:7], -v[166:167]
	v_fma_f64 v[126:127], v[116:117], s[6:7], v[166:167]
	v_add_f64 v[164:165], v[164:165], v[188:189]
	v_mul_f64 v[188:189], v[122:123], s[18:19]
	v_add_f64 v[232:233], v[4:5], v[194:195]
	v_add_f64 v[16:17], v[208:209], v[16:17]
	;; [unrolled: 1-line block ×5, first 2 shown]
	v_mul_f64 v[222:223], v[116:117], s[16:17]
	v_add_f64 v[226:227], v[186:187], v[130:131]
	v_fma_f64 v[130:131], v[106:107], s[6:7], v[202:203]
	v_mul_f64 v[202:203], v[122:123], s[6:7]
	v_add_f64 v[162:163], v[192:193], v[162:163]
	v_mul_f64 v[186:187], v[116:117], s[12:13]
	v_add_f64 v[14:15], v[200:201], v[14:15]
	v_mul_f64 v[192:193], v[190:191], s[30:31]
	v_mul_f64 v[194:195], v[190:191], s[42:43]
	v_add_f64 v[172:173], v[206:207], v[172:173]
	v_mul_f64 v[196:197], v[190:191], s[26:27]
	v_mul_f64 v[200:201], v[190:191], s[44:45]
	v_fma_f64 v[206:207], v[114:115], s[6:7], v[198:199]
	v_fma_f64 v[230:231], v[114:115], s[6:7], -v[198:199]
	v_add_f64 v[18:19], v[174:175], v[18:19]
	v_fma_f64 v[152:153], v[106:107], s[18:19], -v[148:149]
	v_fma_f64 v[148:149], v[106:107], s[18:19], v[148:149]
	v_mul_f64 v[184:185], v[204:205], s[48:49]
	v_fma_f64 v[180:181], v[106:107], s[16:17], v[180:181]
	v_fma_f64 v[88:89], v[122:123], s[10:11], -v[228:229]
	v_add_f64 v[4:5], v[4:5], v[74:75]
	v_mul_f64 v[198:199], v[204:205], s[44:45]
	v_fma_f64 v[102:103], v[122:123], s[10:11], v[228:229]
	v_add_f64 v[174:175], v[226:227], v[224:225]
	v_add_f64 v[114:115], v[222:223], v[22:23]
	;; [unrolled: 1-line block ×3, first 2 shown]
	v_mul_f64 v[202:203], v[190:191], s[38:39]
	v_mul_f64 v[190:191], v[176:177], s[44:45]
	;; [unrolled: 1-line block ×3, first 2 shown]
	v_add_f64 v[22:23], v[234:235], v[210:211]
	v_add_f64 v[124:125], v[188:189], v[124:125]
	;; [unrolled: 1-line block ×3, first 2 shown]
	v_fma_f64 v[186:187], v[122:123], s[22:23], -v[192:193]
	v_fma_f64 v[188:189], v[122:123], s[22:23], v[192:193]
	v_fma_f64 v[192:193], v[122:123], s[4:5], -v[194:195]
	v_fma_f64 v[194:195], v[122:123], s[4:5], v[194:195]
	;; [unrolled: 2-line block ×4, first 2 shown]
	v_add_f64 v[206:207], v[206:207], v[208:209]
	v_add_f64 v[168:169], v[168:169], v[170:171]
	;; [unrolled: 1-line block ×8, first 2 shown]
	v_fma_f64 v[224:225], v[122:123], s[16:17], -v[202:203]
	v_fma_f64 v[122:123], v[122:123], s[16:17], v[202:203]
	v_fma_f64 v[202:203], v[106:107], s[14:15], -v[190:191]
	v_fma_f64 v[106:107], v[106:107], s[14:15], v[190:191]
	v_add_f64 v[148:149], v[148:149], v[158:159]
	v_add_f64 v[144:145], v[144:145], v[156:157]
	;; [unrolled: 1-line block ×5, first 2 shown]
	v_fma_f64 v[190:191], v[116:117], s[22:23], -v[184:185]
	v_fma_f64 v[208:209], v[116:117], s[14:15], -v[198:199]
	v_fma_f64 v[198:199], v[116:117], s[14:15], v[198:199]
	v_fma_f64 v[184:185], v[116:117], s[22:23], v[184:185]
	v_fma_f64 v[226:227], v[116:117], s[4:5], -v[204:205]
	v_fma_f64 v[116:117], v[116:117], s[4:5], v[204:205]
	v_add_f64 v[164:165], v[180:181], v[164:165]
	v_add_f64 v[4:5], v[4:5], v[56:57]
	;; [unrolled: 1-line block ×7, first 2 shown]
	v_mul_f64 v[182:183], v[20:21], s[34:35]
	v_mul_f64 v[170:171], v[20:21], s[26:27]
	v_add_f64 v[176:177], v[202:203], v[176:177]
	v_add_f64 v[106:107], v[106:107], v[206:207]
	v_mul_f64 v[160:161], v[20:21], s[20:21]
	v_mul_f64 v[158:159], v[20:21], s[36:37]
	;; [unrolled: 1-line block ×4, first 2 shown]
	v_add_f64 v[128:129], v[128:129], v[152:153]
	v_add_f64 v[126:127], v[126:127], v[148:149]
	;; [unrolled: 1-line block ×6, first 2 shown]
	v_mul_f64 v[150:151], v[6:7], s[14:15]
	v_add_f64 v[164:165], v[184:185], v[164:165]
	v_add_f64 v[4:5], v[4:5], v[54:55]
	v_mul_f64 v[142:143], v[86:87], s[28:29]
	v_add_f64 v[134:135], v[190:191], v[134:135]
	v_mul_f64 v[180:181], v[86:87], s[26:27]
	v_add_f64 v[24:25], v[24:25], v[114:115]
	v_add_f64 v[114:115], v[124:125], v[120:121]
	v_mul_f64 v[174:175], v[86:87], s[30:31]
	v_mul_f64 v[178:179], v[86:87], s[36:37]
	;; [unrolled: 1-line block ×3, first 2 shown]
	v_add_f64 v[106:107], v[116:117], v[106:107]
	v_add_f64 v[116:117], v[198:199], v[130:131]
	;; [unrolled: 1-line block ×4, first 2 shown]
	v_mul_f64 v[86:87], v[86:87], s[40:41]
	v_fma_f64 v[148:149], v[2:3], s[14:15], -v[182:183]
	v_fma_f64 v[182:183], v[2:3], s[14:15], v[182:183]
	v_fma_f64 v[144:145], v[2:3], s[12:13], -v[170:171]
	v_fma_f64 v[170:171], v[2:3], s[12:13], v[170:171]
	;; [unrolled: 2-line block ×4, first 2 shown]
	v_add_f64 v[4:5], v[4:5], v[80:81]
	v_fma_f64 v[138:139], v[2:3], s[10:11], -v[156:157]
	v_fma_f64 v[156:157], v[2:3], s[10:11], v[156:157]
	v_fma_f64 v[206:207], v[2:3], s[4:5], -v[20:21]
	v_fma_f64 v[2:3], v[2:3], s[4:5], v[20:21]
	v_add_f64 v[20:21], v[88:89], v[128:129]
	v_add_f64 v[88:89], v[102:103], v[126:127]
	;; [unrolled: 1-line block ×12, first 2 shown]
	v_mul_f64 v[146:147], v[8:9], s[22:23]
	v_add_f64 v[12:13], v[150:151], v[12:13]
	v_add_f64 v[18:19], v[18:19], v[24:25]
	;; [unrolled: 1-line block ×3, first 2 shown]
	v_mul_f64 v[154:155], v[104:105], s[34:35]
	v_add_f64 v[4:5], v[4:5], v[44:45]
	v_mul_f64 v[166:167], v[104:105], s[24:25]
	v_mul_f64 v[202:203], v[104:105], s[28:29]
	;; [unrolled: 1-line block ×5, first 2 shown]
	v_fma_f64 v[190:191], v[6:7], s[6:7], -v[142:143]
	v_fma_f64 v[142:143], v[6:7], s[6:7], v[142:143]
	v_fma_f64 v[172:173], v[6:7], s[12:13], -v[180:181]
	v_fma_f64 v[180:181], v[6:7], s[12:13], v[180:181]
	;; [unrolled: 2-line block ×6, first 2 shown]
	v_add_f64 v[86:87], v[182:183], v[88:89]
	v_add_f64 v[88:89], v[144:145], v[102:103]
	v_add_f64 v[102:103], v[170:171], v[112:113]
	v_add_f64 v[110:111], v[140:141], v[110:111]
	v_add_f64 v[4:5], v[4:5], v[94:95]
	v_add_f64 v[108:109], v[160:161], v[108:109]
	v_add_f64 v[20:21], v[148:149], v[20:21]
	v_add_f64 v[112:113], v[158:159], v[120:121]
	v_add_f64 v[2:3], v[2:3], v[116:117]
	v_add_f64 v[24:25], v[136:137], v[118:119]
	v_add_f64 v[114:115], v[206:207], v[122:123]
	v_add_f64 v[106:107], v[156:157], v[106:107]
	v_add_f64 v[116:117], v[138:139], v[124:125]
	v_add_f64 v[10:11], v[146:147], v[10:11]
	v_add_f64 v[16:17], v[16:17], v[18:19]
	v_add_f64 v[12:13], v[12:13], v[22:23]
	v_fma_f64 v[162:163], v[8:9], s[14:15], -v[154:155]
	v_fma_f64 v[154:155], v[8:9], s[14:15], v[154:155]
	v_fma_f64 v[184:185], v[8:9], s[10:11], -v[166:167]
	v_fma_f64 v[166:167], v[8:9], s[10:11], v[166:167]
	;; [unrolled: 2-line block ×5, first 2 shown]
	v_add_f64 v[4:5], v[4:5], v[100:101]
	v_fma_f64 v[136:137], v[8:9], s[16:17], -v[104:105]
	v_fma_f64 v[8:9], v[8:9], s[16:17], v[104:105]
	v_add_f64 v[102:103], v[142:143], v[102:103]
	v_add_f64 v[104:105], v[172:173], v[110:111]
	;; [unrolled: 1-line block ×14, first 2 shown]
	v_mul_u32_u24_e32 v110, 34, v220
	v_add_f64 v[4:5], v[4:5], v[90:91]
	v_or_b32_e32 v110, v110, v219
	v_add_f64 v[8:9], v[8:9], v[102:103]
	v_add_f64 v[102:103], v[162:163], v[104:105]
	;; [unrolled: 1-line block ×12, first 2 shown]
	v_lshlrev_b32_e32 v24, 3, v110
	v_add3_u32 v24, 0, v24, v97
	v_add_f64 v[4:5], v[4:5], v[92:93]
	v_add_f64 v[4:5], v[4:5], v[78:79]
	;; [unrolled: 1-line block ×6, first 2 shown]
	ds_write2_b64 v24, v[84:85], v[82:83] offset0:28 offset1:30
	ds_write2_b64 v24, v[10:11], v[14:15] offset0:4 offset1:6
	;; [unrolled: 1-line block ×7, first 2 shown]
	ds_write2_b64 v24, v[4:5], v[16:17] offset1:2
	ds_write_b64 v24, v[22:23] offset:256
.LBB0_22:
	s_or_b32 exec_lo, exec_lo, s33
	v_add3_u32 v159, 0, v221, v97
	s_waitcnt lgkmcnt(0)
	s_barrier
	buffer_gl0_inv
	v_add3_u32 v158, 0, v97, v221
	v_add_nc_u32_e32 v2, 0xc00, v159
	v_add_nc_u32_e32 v3, 0x1000, v159
	;; [unrolled: 1-line block ×5, first 2 shown]
	ds_read2_b64 v[10:13], v2 offset0:126 offset1:194
	ds_read2_b64 v[14:17], v159 offset0:68 offset1:136
	;; [unrolled: 1-line block ×6, first 2 shown]
	ds_read_b64 v[88:89], v158
	ds_read_b64 v[86:87], v159 offset:7344
	s_and_saveexec_b32 s4, s0
	s_cbranch_execz .LBB0_24
; %bb.23:
	ds_read_b64 v[84:85], v159 offset:3808
	ds_read_b64 v[82:83], v159 offset:7888
.LBB0_24:
	s_or_b32 exec_lo, exec_lo, s4
	v_add_f64 v[152:153], v[64:65], v[62:63]
	s_mov_b32 s14, 0x75d4884
	s_mov_b32 s10, 0x2b2883cd
	;; [unrolled: 1-line block ×4, first 2 shown]
	v_add_f64 v[146:147], v[70:71], -v[68:69]
	v_add_f64 v[136:137], v[66:67], v[52:53]
	s_mov_b32 s16, 0x2a9d6da3
	s_mov_b32 s12, 0x7c9e640b
	;; [unrolled: 1-line block ×8, first 2 shown]
	v_add_f64 v[134:135], v[74:75], -v[76:77]
	v_add_f64 v[130:131], v[60:61], v[58:59]
	s_mov_b32 s4, 0xeb564b22
	s_mov_b32 s20, 0x6c9a05f6
	s_mov_b32 s34, 0x7faef3
	s_mov_b32 s5, 0xbfefdd0d
	s_mov_b32 s21, 0xbfe9895b
	v_mul_f64 v[156:157], v[152:153], s[14:15]
	v_mul_f64 v[154:155], v[152:153], s[10:11]
	s_mov_b32 s35, 0xbfef7484
	v_add_f64 v[124:125], v[28:29], -v[72:73]
	v_add_f64 v[116:117], v[34:35], v[30:31]
	s_mov_b32 s36, 0xacd6c6b4
	v_mul_f64 v[150:151], v[136:137], s[6:7]
	v_mul_f64 v[148:149], v[136:137], s[18:19]
	s_mov_b32 s22, 0xc61f0d01
	s_mov_b32 s37, 0x3fc7851a
	;; [unrolled: 1-line block ×3, first 2 shown]
	v_add_f64 v[114:115], v[56:57], -v[50:51]
	v_add_f64 v[106:107], v[48:49], v[32:33]
	s_mov_b32 s24, 0x923c349f
	s_mov_b32 s50, 0x910ea3b9
	;; [unrolled: 1-line block ×3, first 2 shown]
	v_mul_f64 v[140:141], v[130:131], s[18:19]
	v_mul_f64 v[138:139], v[130:131], s[34:35]
	s_mov_b32 s25, 0x3feec746
	s_mov_b32 s51, 0xbfeb34fa
	;; [unrolled: 1-line block ×3, first 2 shown]
	v_add_f64 v[104:105], v[54:55], -v[78:79]
	v_fma_f64 v[68:69], v[146:147], s[16:17], v[156:157]
	v_fma_f64 v[70:71], v[146:147], s[12:13], v[154:155]
	v_add_f64 v[102:103], v[40:41], v[26:27]
	s_mov_b32 s52, 0x4363dd80
	v_mul_f64 v[132:133], v[116:117], s[34:35]
	v_mul_f64 v[128:129], v[116:117], s[22:23]
	v_fma_f64 v[28:29], v[134:135], s[4:5], v[150:151]
	v_fma_f64 v[72:73], v[134:135], s[20:21], v[148:149]
	s_mov_b32 s40, 0x370991
	s_mov_b32 s53, 0x3fe0d888
	;; [unrolled: 1-line block ×4, first 2 shown]
	v_mul_f64 v[120:121], v[106:107], s[50:51]
	v_mul_f64 v[118:119], v[106:107], s[14:15]
	v_add_f64 v[76:77], v[80:81], -v[92:93]
	s_mov_b32 s44, 0x5d8e7cdc
	v_fma_f64 v[50:51], v[124:125], s[20:21], v[140:141]
	v_fma_f64 v[56:57], v[124:125], s[36:37], v[138:139]
	s_mov_b32 s45, 0xbfd71e95
	s_mov_b32 s31, 0x3feca52d
	;; [unrolled: 1-line block ×4, first 2 shown]
	v_add_f64 v[68:69], v[0:1], v[68:69]
	v_add_f64 v[70:71], v[0:1], v[70:71]
	v_mul_f64 v[110:111], v[102:103], s[22:23]
	v_mul_f64 v[108:109], v[102:103], s[40:41]
	v_fma_f64 v[54:55], v[114:115], s[38:39], v[132:133]
	s_mov_b32 s55, 0xbfe0d888
	s_mov_b32 s46, s44
	;; [unrolled: 1-line block ×3, first 2 shown]
	s_waitcnt lgkmcnt(0)
	s_barrier
	buffer_gl0_inv
	v_fma_f64 v[80:81], v[104:105], s[28:29], v[118:119]
	v_add_f64 v[28:29], v[28:29], v[68:69]
	v_add_f64 v[68:69], v[72:73], v[70:71]
	v_fma_f64 v[70:71], v[114:115], s[24:25], v[128:129]
	v_add_f64 v[72:73], v[46:47], v[42:43]
	v_add_f64 v[28:29], v[50:51], v[28:29]
	;; [unrolled: 1-line block ×3, first 2 shown]
	v_fma_f64 v[56:57], v[104:105], s[52:53], v[120:121]
	v_add_f64 v[68:69], v[44:45], -v[90:91]
	v_add_f64 v[44:45], v[36:37], v[38:39]
	v_mul_f64 v[78:79], v[72:73], s[10:11]
	v_mul_f64 v[74:75], v[72:73], s[6:7]
	v_fma_f64 v[90:91], v[76:77], s[44:45], v[108:109]
	v_add_f64 v[28:29], v[54:55], v[28:29]
	v_add_f64 v[50:51], v[70:71], v[50:51]
	v_fma_f64 v[70:71], v[76:77], s[24:25], v[110:111]
	v_mul_f64 v[54:55], v[44:45], s[40:41]
	v_fma_f64 v[92:93], v[68:69], s[30:31], v[78:79]
	v_add_f64 v[56:57], v[56:57], v[28:29]
	v_add_f64 v[80:81], v[80:81], v[50:51]
	v_add_f64 v[28:29], v[94:95], -v[100:101]
	v_mul_f64 v[50:51], v[44:45], s[50:51]
	v_fma_f64 v[94:95], v[68:69], s[4:5], v[74:75]
	v_add_f64 v[56:57], v[70:71], v[56:57]
	v_add_f64 v[70:71], v[90:91], v[80:81]
	v_fma_f64 v[80:81], v[28:29], s[46:47], v[54:55]
	v_fma_f64 v[90:91], v[28:29], s[54:55], v[50:51]
	v_add_f64 v[56:57], v[92:93], v[56:57]
	v_add_f64 v[70:71], v[94:95], v[70:71]
	;; [unrolled: 1-line block ×4, first 2 shown]
	s_and_saveexec_b32 s33, s1
	s_cbranch_execz .LBB0_26
; %bb.25:
	v_add_f64 v[64:65], v[0:1], v[64:65]
	v_mul_f64 v[160:161], v[146:147], s[16:17]
	v_mul_f64 v[162:163], v[146:147], s[12:13]
	s_mov_b32 s27, 0x3fefdd0d
	s_mov_b32 s26, s4
	;; [unrolled: 1-line block ×6, first 2 shown]
	v_mul_f64 v[164:165], v[134:135], s[4:5]
	v_mul_f64 v[166:167], v[134:135], s[20:21]
	;; [unrolled: 1-line block ×13, first 2 shown]
	v_add_f64 v[64:65], v[64:65], v[66:67]
	v_mul_f64 v[56:57], v[28:29], s[54:55]
	v_add_f64 v[60:61], v[64:65], v[60:61]
	v_add_f64 v[34:35], v[60:61], v[34:35]
	;; [unrolled: 1-line block ×3, first 2 shown]
	v_mul_f64 v[48:49], v[152:153], s[18:19]
	v_add_f64 v[34:35], v[34:35], v[40:41]
	v_add_f64 v[34:35], v[34:35], v[46:47]
	;; [unrolled: 1-line block ×3, first 2 shown]
	v_add_f64 v[36:37], v[154:155], -v[162:163]
	v_add_f64 v[34:35], v[34:35], v[38:39]
	v_mul_f64 v[38:39], v[152:153], s[6:7]
	v_add_f64 v[36:37], v[0:1], v[36:37]
	v_add_f64 v[34:35], v[34:35], v[42:43]
	v_mul_f64 v[42:43], v[152:153], s[22:23]
	v_fma_f64 v[40:41], v[146:147], s[26:27], v[38:39]
	v_fma_f64 v[38:39], v[146:147], s[4:5], v[38:39]
	v_add_f64 v[26:27], v[34:35], v[26:27]
	v_add_f64 v[34:35], v[156:157], -v[160:161]
	v_fma_f64 v[46:47], v[146:147], s[24:25], v[42:43]
	v_fma_f64 v[42:43], v[146:147], s[42:43], v[42:43]
	v_add_f64 v[40:41], v[0:1], v[40:41]
	v_add_f64 v[38:39], v[0:1], v[38:39]
	;; [unrolled: 1-line block ×7, first 2 shown]
	v_mul_f64 v[30:31], v[152:153], s[40:41]
	v_add_f64 v[26:27], v[26:27], v[58:59]
	v_mul_f64 v[58:59], v[152:153], s[50:51]
	v_fma_f64 v[32:33], v[146:147], s[46:47], v[30:31]
	v_fma_f64 v[30:31], v[146:147], s[44:45], v[30:31]
	v_add_f64 v[26:27], v[26:27], v[52:53]
	v_fma_f64 v[52:53], v[146:147], s[48:49], v[48:49]
	v_fma_f64 v[48:49], v[146:147], s[20:21], v[48:49]
	v_fma_f64 v[60:61], v[146:147], s[52:53], v[58:59]
	v_fma_f64 v[58:59], v[146:147], s[54:55], v[58:59]
	v_add_f64 v[32:33], v[0:1], v[32:33]
	v_add_f64 v[30:31], v[0:1], v[30:31]
	;; [unrolled: 1-line block ×3, first 2 shown]
	v_mul_f64 v[62:63], v[152:153], s[34:35]
	v_add_f64 v[52:53], v[0:1], v[52:53]
	v_add_f64 v[48:49], v[0:1], v[48:49]
	;; [unrolled: 1-line block ×4, first 2 shown]
	v_fma_f64 v[64:65], v[146:147], s[36:37], v[62:63]
	v_fma_f64 v[62:63], v[146:147], s[38:39], v[62:63]
	v_add_f64 v[64:65], v[0:1], v[64:65]
	v_add_f64 v[0:1], v[0:1], v[62:63]
	v_mul_f64 v[62:63], v[136:137], s[14:15]
	v_fma_f64 v[66:67], v[134:135], s[28:29], v[62:63]
	v_fma_f64 v[62:63], v[134:135], s[16:17], v[62:63]
	v_add_f64 v[32:33], v[66:67], v[32:33]
	v_add_f64 v[30:31], v[62:63], v[30:31]
	v_add_f64 v[62:63], v[150:151], -v[164:165]
	v_add_f64 v[34:35], v[62:63], v[34:35]
	v_add_f64 v[62:63], v[148:149], -v[166:167]
	v_add_f64 v[36:37], v[62:63], v[36:37]
	v_mul_f64 v[62:63], v[136:137], s[34:35]
	v_fma_f64 v[66:67], v[134:135], s[36:37], v[62:63]
	v_fma_f64 v[62:63], v[134:135], s[38:39], v[62:63]
	v_add_f64 v[40:41], v[66:67], v[40:41]
	v_add_f64 v[38:39], v[62:63], v[38:39]
	v_mul_f64 v[62:63], v[136:137], s[50:51]
	v_fma_f64 v[66:67], v[134:135], s[54:55], v[62:63]
	v_fma_f64 v[62:63], v[134:135], s[52:53], v[62:63]
	v_add_f64 v[46:47], v[66:67], v[46:47]
	v_add_f64 v[42:43], v[62:63], v[42:43]
	v_mul_f64 v[62:63], v[136:137], s[22:23]
	v_fma_f64 v[66:67], v[134:135], s[42:43], v[62:63]
	v_fma_f64 v[62:63], v[134:135], s[24:25], v[62:63]
	v_add_f64 v[52:53], v[66:67], v[52:53]
	v_add_f64 v[48:49], v[62:63], v[48:49]
	v_mul_f64 v[62:63], v[136:137], s[10:11]
	v_fma_f64 v[66:67], v[134:135], s[12:13], v[62:63]
	v_fma_f64 v[62:63], v[134:135], s[30:31], v[62:63]
	v_add_f64 v[60:61], v[66:67], v[60:61]
	v_add_f64 v[58:59], v[62:63], v[58:59]
	v_mul_f64 v[62:63], v[136:137], s[40:41]
	v_fma_f64 v[66:67], v[134:135], s[44:45], v[62:63]
	v_fma_f64 v[62:63], v[134:135], s[46:47], v[62:63]
	v_add_f64 v[64:65], v[66:67], v[64:65]
	v_add_f64 v[0:1], v[62:63], v[0:1]
	v_mul_f64 v[62:63], v[130:131], s[10:11]
	v_fma_f64 v[66:67], v[124:125], s[30:31], v[62:63]
	v_fma_f64 v[62:63], v[124:125], s[12:13], v[62:63]
	v_add_f64 v[32:33], v[66:67], v[32:33]
	v_add_f64 v[30:31], v[62:63], v[30:31]
	v_add_f64 v[62:63], v[140:141], -v[168:169]
	v_add_f64 v[34:35], v[62:63], v[34:35]
	v_add_f64 v[62:63], v[138:139], -v[170:171]
	v_add_f64 v[36:37], v[62:63], v[36:37]
	v_mul_f64 v[62:63], v[130:131], s[22:23]
	v_fma_f64 v[66:67], v[124:125], s[42:43], v[62:63]
	v_fma_f64 v[62:63], v[124:125], s[24:25], v[62:63]
	v_add_f64 v[40:41], v[66:67], v[40:41]
	v_add_f64 v[38:39], v[62:63], v[38:39]
	v_mul_f64 v[62:63], v[130:131], s[14:15]
	v_fma_f64 v[66:67], v[124:125], s[16:17], v[62:63]
	v_fma_f64 v[62:63], v[124:125], s[28:29], v[62:63]
	v_add_f64 v[46:47], v[66:67], v[46:47]
	v_add_f64 v[42:43], v[62:63], v[42:43]
	v_mul_f64 v[62:63], v[130:131], s[40:41]
	v_fma_f64 v[66:67], v[124:125], s[46:47], v[62:63]
	v_fma_f64 v[62:63], v[124:125], s[44:45], v[62:63]
	v_add_f64 v[52:53], v[66:67], v[52:53]
	v_add_f64 v[48:49], v[62:63], v[48:49]
	v_mul_f64 v[62:63], v[130:131], s[6:7]
	v_fma_f64 v[66:67], v[124:125], s[26:27], v[62:63]
	v_fma_f64 v[62:63], v[124:125], s[4:5], v[62:63]
	v_add_f64 v[60:61], v[66:67], v[60:61]
	v_add_f64 v[58:59], v[62:63], v[58:59]
	v_mul_f64 v[62:63], v[130:131], s[50:51]
	v_fma_f64 v[66:67], v[124:125], s[52:53], v[62:63]
	v_fma_f64 v[62:63], v[124:125], s[54:55], v[62:63]
	v_add_f64 v[64:65], v[66:67], v[64:65]
	v_add_f64 v[0:1], v[62:63], v[0:1]
	v_mul_f64 v[62:63], v[116:117], s[6:7]
	v_fma_f64 v[66:67], v[114:115], s[26:27], v[62:63]
	v_fma_f64 v[62:63], v[114:115], s[4:5], v[62:63]
	v_add_f64 v[32:33], v[66:67], v[32:33]
	v_add_f64 v[30:31], v[62:63], v[30:31]
	v_add_f64 v[62:63], v[132:133], -v[144:145]
	v_add_f64 v[34:35], v[62:63], v[34:35]
	v_add_f64 v[62:63], v[128:129], -v[142:143]
	v_add_f64 v[36:37], v[62:63], v[36:37]
	v_mul_f64 v[62:63], v[116:117], s[40:41]
	v_fma_f64 v[66:67], v[114:115], s[44:45], v[62:63]
	v_fma_f64 v[62:63], v[114:115], s[46:47], v[62:63]
	v_add_f64 v[40:41], v[66:67], v[40:41]
	v_add_f64 v[38:39], v[62:63], v[38:39]
	v_mul_f64 v[62:63], v[116:117], s[10:11]
	v_fma_f64 v[66:67], v[114:115], s[30:31], v[62:63]
	v_fma_f64 v[62:63], v[114:115], s[12:13], v[62:63]
	v_add_f64 v[46:47], v[66:67], v[46:47]
	v_add_f64 v[42:43], v[62:63], v[42:43]
	v_mul_f64 v[62:63], v[116:117], s[50:51]
	v_fma_f64 v[66:67], v[114:115], s[52:53], v[62:63]
	v_fma_f64 v[62:63], v[114:115], s[54:55], v[62:63]
	v_add_f64 v[52:53], v[66:67], v[52:53]
	v_add_f64 v[48:49], v[62:63], v[48:49]
	v_mul_f64 v[62:63], v[116:117], s[18:19]
	v_fma_f64 v[66:67], v[114:115], s[20:21], v[62:63]
	v_fma_f64 v[62:63], v[114:115], s[48:49], v[62:63]
	v_add_f64 v[60:61], v[66:67], v[60:61]
	v_add_f64 v[58:59], v[62:63], v[58:59]
	v_mul_f64 v[62:63], v[116:117], s[14:15]
	v_fma_f64 v[66:67], v[114:115], s[16:17], v[62:63]
	v_fma_f64 v[62:63], v[114:115], s[28:29], v[62:63]
	v_add_f64 v[64:65], v[66:67], v[64:65]
	v_add_f64 v[0:1], v[62:63], v[0:1]
	v_mul_f64 v[62:63], v[106:107], s[22:23]
	v_fma_f64 v[66:67], v[104:105], s[24:25], v[62:63]
	v_fma_f64 v[62:63], v[104:105], s[42:43], v[62:63]
	v_add_f64 v[32:33], v[66:67], v[32:33]
	v_add_f64 v[30:31], v[62:63], v[30:31]
	v_add_f64 v[62:63], v[120:121], -v[126:127]
	v_add_f64 v[34:35], v[62:63], v[34:35]
	v_add_f64 v[62:63], v[118:119], -v[122:123]
	v_add_f64 v[36:37], v[62:63], v[36:37]
	v_mul_f64 v[62:63], v[106:107], s[10:11]
	v_fma_f64 v[66:67], v[104:105], s[30:31], v[62:63]
	v_fma_f64 v[62:63], v[104:105], s[12:13], v[62:63]
	v_add_f64 v[40:41], v[66:67], v[40:41]
	v_add_f64 v[38:39], v[62:63], v[38:39]
	v_mul_f64 v[62:63], v[106:107], s[34:35]
	v_fma_f64 v[66:67], v[104:105], s[36:37], v[62:63]
	v_fma_f64 v[62:63], v[104:105], s[38:39], v[62:63]
	v_add_f64 v[46:47], v[66:67], v[46:47]
	v_add_f64 v[42:43], v[62:63], v[42:43]
	v_mul_f64 v[62:63], v[106:107], s[6:7]
	v_fma_f64 v[66:67], v[104:105], s[4:5], v[62:63]
	v_fma_f64 v[62:63], v[104:105], s[26:27], v[62:63]
	v_add_f64 v[52:53], v[66:67], v[52:53]
	v_add_f64 v[48:49], v[62:63], v[48:49]
	v_mul_f64 v[62:63], v[106:107], s[40:41]
	v_fma_f64 v[66:67], v[104:105], s[46:47], v[62:63]
	v_fma_f64 v[62:63], v[104:105], s[44:45], v[62:63]
	v_add_f64 v[60:61], v[66:67], v[60:61]
	v_add_f64 v[58:59], v[62:63], v[58:59]
	v_mul_f64 v[62:63], v[106:107], s[18:19]
	v_fma_f64 v[66:67], v[104:105], s[48:49], v[62:63]
	v_fma_f64 v[62:63], v[104:105], s[20:21], v[62:63]
	v_add_f64 v[64:65], v[66:67], v[64:65]
	v_add_f64 v[0:1], v[62:63], v[0:1]
	v_mul_f64 v[62:63], v[102:103], s[18:19]
	v_fma_f64 v[66:67], v[76:77], s[48:49], v[62:63]
	v_fma_f64 v[62:63], v[76:77], s[20:21], v[62:63]
	v_add_f64 v[32:33], v[66:67], v[32:33]
	v_add_f64 v[30:31], v[62:63], v[30:31]
	v_add_f64 v[62:63], v[110:111], -v[112:113]
	v_add_f64 v[34:35], v[62:63], v[34:35]
	v_add_f64 v[62:63], v[108:109], -v[100:101]
	v_add_f64 v[36:37], v[62:63], v[36:37]
	v_mul_f64 v[62:63], v[102:103], s[50:51]
	v_fma_f64 v[66:67], v[76:77], s[52:53], v[62:63]
	v_fma_f64 v[62:63], v[76:77], s[54:55], v[62:63]
	v_add_f64 v[40:41], v[66:67], v[40:41]
	v_add_f64 v[38:39], v[62:63], v[38:39]
	v_mul_f64 v[62:63], v[102:103], s[6:7]
	v_fma_f64 v[66:67], v[76:77], s[4:5], v[62:63]
	v_fma_f64 v[62:63], v[76:77], s[26:27], v[62:63]
	v_add_f64 v[46:47], v[66:67], v[46:47]
	v_add_f64 v[42:43], v[62:63], v[42:43]
	v_mul_f64 v[62:63], v[102:103], s[14:15]
	v_fma_f64 v[66:67], v[76:77], s[28:29], v[62:63]
	v_fma_f64 v[62:63], v[76:77], s[16:17], v[62:63]
	v_add_f64 v[52:53], v[66:67], v[52:53]
	v_add_f64 v[48:49], v[62:63], v[48:49]
	v_mul_f64 v[62:63], v[102:103], s[34:35]
	v_fma_f64 v[66:67], v[76:77], s[36:37], v[62:63]
	v_fma_f64 v[62:63], v[76:77], s[38:39], v[62:63]
	v_add_f64 v[60:61], v[66:67], v[60:61]
	v_add_f64 v[58:59], v[62:63], v[58:59]
	v_mul_f64 v[62:63], v[102:103], s[10:11]
	v_fma_f64 v[66:67], v[76:77], s[12:13], v[62:63]
	v_fma_f64 v[62:63], v[76:77], s[30:31], v[62:63]
	v_add_f64 v[64:65], v[66:67], v[64:65]
	v_add_f64 v[0:1], v[62:63], v[0:1]
	v_mul_f64 v[62:63], v[72:73], s[50:51]
	v_fma_f64 v[66:67], v[68:69], s[52:53], v[62:63]
	v_fma_f64 v[62:63], v[68:69], s[54:55], v[62:63]
	v_add_f64 v[32:33], v[66:67], v[32:33]
	v_add_f64 v[62:63], v[62:63], v[30:31]
	v_add_f64 v[30:31], v[78:79], -v[94:95]
	v_add_f64 v[34:35], v[30:31], v[34:35]
	v_add_f64 v[30:31], v[74:75], -v[80:81]
	v_add_f64 v[36:37], v[30:31], v[36:37]
	v_mul_f64 v[30:31], v[72:73], s[18:19]
	v_fma_f64 v[66:67], v[68:69], s[20:21], v[30:31]
	v_fma_f64 v[30:31], v[68:69], s[48:49], v[30:31]
	v_add_f64 v[40:41], v[66:67], v[40:41]
	v_add_f64 v[38:39], v[30:31], v[38:39]
	v_mul_f64 v[30:31], v[72:73], s[40:41]
	v_fma_f64 v[66:67], v[68:69], s[46:47], v[30:31]
	v_fma_f64 v[30:31], v[68:69], s[44:45], v[30:31]
	v_add_f64 v[46:47], v[66:67], v[46:47]
	v_add_f64 v[42:43], v[30:31], v[42:43]
	v_mul_f64 v[30:31], v[72:73], s[34:35]
	v_fma_f64 v[66:67], v[68:69], s[36:37], v[30:31]
	v_fma_f64 v[30:31], v[68:69], s[38:39], v[30:31]
	v_add_f64 v[52:53], v[66:67], v[52:53]
	v_add_f64 v[48:49], v[30:31], v[48:49]
	v_mul_f64 v[30:31], v[72:73], s[14:15]
	v_fma_f64 v[66:67], v[68:69], s[16:17], v[30:31]
	v_fma_f64 v[30:31], v[68:69], s[28:29], v[30:31]
	v_add_f64 v[60:61], v[66:67], v[60:61]
	v_add_f64 v[58:59], v[30:31], v[58:59]
	v_mul_f64 v[30:31], v[72:73], s[22:23]
	v_fma_f64 v[66:67], v[68:69], s[24:25], v[30:31]
	v_fma_f64 v[30:31], v[68:69], s[42:43], v[30:31]
	v_add_f64 v[64:65], v[66:67], v[64:65]
	v_add_f64 v[66:67], v[30:31], v[0:1]
	v_mul_f64 v[0:1], v[44:45], s[34:35]
	v_fma_f64 v[30:31], v[28:29], s[36:37], v[0:1]
	v_fma_f64 v[0:1], v[28:29], s[38:39], v[0:1]
	v_add_f64 v[30:31], v[30:31], v[32:33]
	v_add_f64 v[32:33], v[54:55], -v[70:71]
	v_add_f64 v[0:1], v[0:1], v[62:63]
	v_add_f64 v[32:33], v[32:33], v[34:35]
	v_add_f64 v[34:35], v[50:51], -v[56:57]
	v_add_f64 v[34:35], v[34:35], v[36:37]
	v_mul_f64 v[36:37], v[44:45], s[14:15]
	v_fma_f64 v[50:51], v[28:29], s[16:17], v[36:37]
	v_fma_f64 v[36:37], v[28:29], s[28:29], v[36:37]
	v_add_f64 v[40:41], v[50:51], v[40:41]
	v_add_f64 v[36:37], v[36:37], v[38:39]
	v_mul_f64 v[38:39], v[44:45], s[18:19]
	v_fma_f64 v[50:51], v[28:29], s[48:49], v[38:39]
	v_fma_f64 v[38:39], v[28:29], s[20:21], v[38:39]
	v_add_f64 v[46:47], v[50:51], v[46:47]
	;; [unrolled: 5-line block ×3, first 2 shown]
	v_add_f64 v[42:43], v[42:43], v[48:49]
	v_mul_f64 v[48:49], v[44:45], s[22:23]
	v_mul_f64 v[44:45], v[44:45], s[6:7]
	v_fma_f64 v[52:53], v[28:29], s[24:25], v[48:49]
	v_fma_f64 v[48:49], v[28:29], s[42:43], v[48:49]
	;; [unrolled: 1-line block ×4, first 2 shown]
	v_mul_u32_u24_e32 v44, 34, v220
	v_or_b32_e32 v44, v44, v219
	v_lshlrev_b32_e32 v44, 3, v44
	v_add3_u32 v44, 0, v44, v97
	v_add_f64 v[52:53], v[52:53], v[60:61]
	v_add_f64 v[48:49], v[48:49], v[58:59]
	;; [unrolled: 1-line block ×4, first 2 shown]
	ds_write2_b64 v44, v[26:27], v[30:31] offset1:2
	ds_write2_b64 v44, v[32:33], v[34:35] offset0:4 offset1:6
	ds_write2_b64 v44, v[40:41], v[46:47] offset0:8 offset1:10
	;; [unrolled: 1-line block ×7, first 2 shown]
	ds_write_b64 v44, v[0:1] offset:256
.LBB0_26:
	s_or_b32 exec_lo, exec_lo, s33
	v_add_nc_u32_e32 v0, 0xc00, v159
	v_add_nc_u32_e32 v1, 0x1000, v159
	s_waitcnt lgkmcnt(0)
	s_barrier
	buffer_gl0_inv
	ds_read2_b64 v[38:41], v0 offset0:126 offset1:194
	v_add_nc_u32_e32 v0, 0x400, v159
	v_add_nc_u32_e32 v34, 0x1800, v159
	;; [unrolled: 1-line block ×3, first 2 shown]
	ds_read2_b64 v[26:29], v159 offset0:68 offset1:136
	ds_read2_b64 v[42:45], v1 offset0:134 offset1:202
	ds_read2_b64 v[30:33], v0 offset0:76 offset1:144
	ds_read2_b64 v[46:49], v34 offset0:14 offset1:82
	ds_read2_b64 v[34:37], v35 offset0:84 offset1:152
	ds_read_b64 v[94:95], v158
	ds_read_b64 v[0:1], v159 offset:7344
	s_and_saveexec_b32 s1, s0
	s_cbranch_execz .LBB0_28
; %bb.27:
	ds_read_b64 v[90:91], v159 offset:3808
	ds_read_b64 v[92:93], v159 offset:7888
.LBB0_28:
	s_or_b32 exec_lo, exec_lo, s1
	v_and_b32_e32 v50, 0xff, v213
	v_subrev_nc_u32_e32 v51, 34, v96
	v_mov_b32_e32 v103, 0
	v_and_b32_e32 v100, 0xff, v212
	v_mov_b32_e32 v52, 0xf0f1
	v_mul_lo_u16 v50, 0xf1, v50
	v_cndmask_b32_e64 v102, v51, v96, s0
	v_mov_b32_e32 v53, 4
	v_mul_lo_u16 v54, 0xf1, v100
	v_mul_u32_u24_sdwa v55, v214, v52 dst_sel:DWORD dst_unused:UNUSED_PAD src0_sel:WORD_0 src1_sel:DWORD
	v_lshrrev_b16 v123, 13, v50
	v_lshlrev_b64 v[50:51], 4, v[102:103]
	v_mul_u32_u24_sdwa v56, v215, v52 dst_sel:DWORD dst_unused:UNUSED_PAD src0_sel:WORD_0 src1_sel:DWORD
	v_mul_u32_u24_sdwa v57, v217, v52 dst_sel:DWORD dst_unused:UNUSED_PAD src0_sel:WORD_0 src1_sel:DWORD
	;; [unrolled: 1-line block ×3, first 2 shown]
	v_mul_lo_u16 v59, v123, 34
	v_lshrrev_b16 v124, 13, v54
	v_add_co_u32 v50, s1, s8, v50
	v_lshrrev_b32_e32 v125, 21, v55
	v_sub_nc_u16 v128, v213, v59
	v_lshrrev_b32_e32 v126, 21, v56
	v_add_co_ci_u32_e64 v51, s1, s9, v51, s1
	v_lshrrev_b32_e32 v127, 21, v57
	v_lshlrev_b32_sdwa v59, v53, v128 dst_sel:DWORD dst_unused:UNUSED_PAD src0_sel:DWORD src1_sel:BYTE_0
	v_lshrrev_b32_e32 v129, 21, v58
	v_mul_lo_u16 v62, v124, 34
	v_mul_lo_u16 v63, v125, 34
	s_clause 0x1
	global_load_dwordx4 v[54:57], v[50:51], off offset:512
	global_load_dwordx4 v[58:61], v59, s[8:9] offset:512
	v_mul_lo_u16 v50, v126, 34
	v_mul_lo_u16 v51, v127, 34
	;; [unrolled: 1-line block ×3, first 2 shown]
	v_sub_nc_u16 v130, v212, v62
	v_sub_nc_u16 v131, v214, v63
	;; [unrolled: 1-line block ×5, first 2 shown]
	v_lshlrev_b32_sdwa v50, v53, v130 dst_sel:DWORD dst_unused:UNUSED_PAD src0_sel:DWORD src1_sel:BYTE_0
	v_lshlrev_b32_sdwa v51, v53, v131 dst_sel:DWORD dst_unused:UNUSED_PAD src0_sel:DWORD src1_sel:WORD_0
	v_lshlrev_b32_sdwa v70, v53, v132 dst_sel:DWORD dst_unused:UNUSED_PAD src0_sel:DWORD src1_sel:WORD_0
	;; [unrolled: 1-line block ×4, first 2 shown]
	s_clause 0x4
	global_load_dwordx4 v[62:65], v50, s[8:9] offset:512
	global_load_dwordx4 v[66:69], v51, s[8:9] offset:512
	;; [unrolled: 1-line block ×5, first 2 shown]
	v_mul_u32_u24_sdwa v50, v216, v52 dst_sel:DWORD dst_unused:UNUSED_PAD src0_sel:WORD_0 src1_sel:DWORD
	v_cmp_lt_u32_e64 s1, 33, v96
	v_lshlrev_b32_e32 v102, 3, v102
	v_lshrrev_b32_e32 v50, 21, v50
	v_cndmask_b32_e64 v135, 0, 0x220, s1
	v_mul_lo_u16 v50, v50, 34
	v_sub_nc_u16 v101, v216, v50
	v_lshlrev_b32_sdwa v50, v53, v101 dst_sel:DWORD dst_unused:UNUSED_PAD src0_sel:DWORD src1_sel:WORD_0
	global_load_dwordx4 v[50:53], v50, s[8:9] offset:512
	s_waitcnt vmcnt(0) lgkmcnt(0)
	s_barrier
	buffer_gl0_inv
	v_mul_f64 v[103:104], v[38:39], v[56:57]
	v_mul_f64 v[105:106], v[40:41], v[60:61]
	;; [unrolled: 1-line block ×7, first 2 shown]
	v_fma_f64 v[103:104], v[10:11], v[54:55], v[103:104]
	v_fma_f64 v[105:106], v[12:13], v[58:59], v[105:106]
	;; [unrolled: 1-line block ×7, first 2 shown]
	v_add_f64 v[117:118], v[88:89], -v[103:104]
	v_add_f64 v[119:120], v[14:15], -v[105:106]
	v_add_nc_u32_e32 v103, 0, v135
	v_and_b32_e32 v104, 0xffff, v124
	v_mad_u32_u24 v105, 0x220, v125, 0
	v_mad_u32_u24 v106, 0x220, v126, 0
	;; [unrolled: 1-line block ×3, first 2 shown]
	v_add3_u32 v102, v103, v102, v97
	v_and_b32_e32 v103, 0xffff, v123
	v_mad_u32_u24 v104, 0x220, v104, 0
	v_add_f64 v[121:122], v[16:17], -v[107:108]
	v_add_f64 v[108:109], v[18:19], -v[109:110]
	;; [unrolled: 1-line block ×5, first 2 shown]
	v_mov_b32_e32 v107, 3
	v_mad_u32_u24 v116, 0x220, v127, 0
	v_mad_u32_u24 v103, 0x220, v103, 0
	v_lshlrev_b32_sdwa v126, v107, v131 dst_sel:DWORD dst_unused:UNUSED_PAD src0_sel:DWORD src1_sel:WORD_0
	v_fma_f64 v[123:124], v[88:89], 2.0, -v[117:118]
	v_fma_f64 v[14:15], v[14:15], 2.0, -v[119:120]
	v_lshlrev_b32_sdwa v88, v107, v128 dst_sel:DWORD dst_unused:UNUSED_PAD src0_sel:DWORD src1_sel:BYTE_0
	v_lshlrev_b32_sdwa v89, v107, v130 dst_sel:DWORD dst_unused:UNUSED_PAD src0_sel:DWORD src1_sel:BYTE_0
	v_lshlrev_b32_sdwa v127, v107, v132 dst_sel:DWORD dst_unused:UNUSED_PAD src0_sel:DWORD src1_sel:WORD_0
	v_lshlrev_b32_sdwa v128, v107, v133 dst_sel:DWORD dst_unused:UNUSED_PAD src0_sel:DWORD src1_sel:WORD_0
	;; [unrolled: 1-line block ×3, first 2 shown]
	v_add3_u32 v88, v103, v88, v97
	v_add3_u32 v89, v104, v89, v97
	;; [unrolled: 1-line block ×4, first 2 shown]
	v_fma_f64 v[16:17], v[16:17], 2.0, -v[121:122]
	v_fma_f64 v[18:19], v[18:19], 2.0, -v[108:109]
	;; [unrolled: 1-line block ×5, first 2 shown]
	v_add3_u32 v105, v116, v128, v97
	v_add3_u32 v106, v125, v129, v97
	ds_write2_b64 v102, v[123:124], v[117:118] offset1:34
	ds_write2_b64 v88, v[14:15], v[119:120] offset1:34
	;; [unrolled: 1-line block ×7, first 2 shown]
	s_and_saveexec_b32 s1, s0
	s_cbranch_execz .LBB0_30
; %bb.29:
	v_mul_f64 v[14:15], v[92:93], v[52:53]
	v_lshlrev_b32_sdwa v18, v107, v101 dst_sel:DWORD dst_unused:UNUSED_PAD src0_sel:DWORD src1_sel:WORD_0
	v_add3_u32 v18, 0, v18, v97
	v_add_nc_u32_e32 v18, 0x1800, v18
	v_fma_f64 v[14:15], v[82:83], v[50:51], v[14:15]
	v_add_f64 v[14:15], v[84:85], -v[14:15]
	v_fma_f64 v[16:17], v[84:85], 2.0, -v[14:15]
	ds_write2_b64 v18, v[16:17], v[14:15] offset0:184 offset1:218
.LBB0_30:
	s_or_b32 exec_lo, exec_lo, s1
	v_mul_f64 v[10:11], v[10:11], v[56:57]
	v_mul_f64 v[12:13], v[12:13], v[60:61]
	;; [unrolled: 1-line block ×7, first 2 shown]
	s_waitcnt lgkmcnt(0)
	s_barrier
	buffer_gl0_inv
	v_fma_f64 v[10:11], v[38:39], v[54:55], -v[10:11]
	v_fma_f64 v[12:13], v[40:41], v[58:59], -v[12:13]
	v_fma_f64 v[6:7], v[42:43], v[62:63], -v[6:7]
	v_fma_f64 v[8:9], v[44:45], v[66:67], -v[8:9]
	v_fma_f64 v[2:3], v[46:47], v[70:71], -v[2:3]
	v_fma_f64 v[4:5], v[48:49], v[74:75], -v[4:5]
	v_fma_f64 v[0:1], v[0:1], v[78:79], -v[14:15]
	v_add_nc_u32_e32 v40, 0x800, v159
	v_add_nc_u32_e32 v42, 0xc00, v159
	;; [unrolled: 1-line block ×6, first 2 shown]
	ds_read_b64 v[38:39], v158
	v_add_f64 v[46:47], v[94:95], -v[10:11]
	v_add_f64 v[48:49], v[26:27], -v[12:13]
	;; [unrolled: 1-line block ×7, first 2 shown]
	ds_read2_b64 v[0:3], v159 offset0:68 offset1:136
	ds_read2_b64 v[16:19], v40 offset0:84 offset1:152
	;; [unrolled: 1-line block ×4, first 2 shown]
	v_fma_f64 v[64:65], v[94:95], 2.0, -v[46:47]
	v_fma_f64 v[66:67], v[26:27], 2.0, -v[48:49]
	ds_read2_b64 v[24:27], v42 offset0:92 offset1:160
	ds_read2_b64 v[4:7], v45 offset0:76 offset1:144
	;; [unrolled: 1-line block ×3, first 2 shown]
	v_fma_f64 v[68:69], v[28:29], 2.0, -v[54:55]
	v_fma_f64 v[29:30], v[30:31], 2.0, -v[56:57]
	;; [unrolled: 1-line block ×5, first 2 shown]
	v_lshlrev_b32_e32 v28, 1, v96
	s_waitcnt lgkmcnt(0)
	s_barrier
	buffer_gl0_inv
	ds_write2_b64 v102, v[64:65], v[46:47] offset1:34
	ds_write2_b64 v88, v[66:67], v[48:49] offset1:34
	;; [unrolled: 1-line block ×7, first 2 shown]
	s_and_saveexec_b32 s1, s0
	s_cbranch_execz .LBB0_32
; %bb.31:
	v_mul_f64 v[29:30], v[82:83], v[52:53]
	v_mov_b32_e32 v33, 3
	v_lshlrev_b32_sdwa v33, v33, v101 dst_sel:DWORD dst_unused:UNUSED_PAD src0_sel:DWORD src1_sel:WORD_0
	v_add3_u32 v33, 0, v33, v97
	v_add_nc_u32_e32 v33, 0x1800, v33
	v_fma_f64 v[29:30], v[92:93], v[50:51], -v[29:30]
	v_add_f64 v[29:30], v[90:91], -v[29:30]
	v_fma_f64 v[31:32], v[90:91], 2.0, -v[29:30]
	ds_write2_b64 v33, v[31:32], v[29:30] offset0:184 offset1:218
.LBB0_32:
	s_or_b32 exec_lo, exec_lo, s1
	v_mul_lo_u16 v30, 0x79, v100
	v_mov_b32_e32 v31, 0xf0f1
	v_mov_b32_e32 v29, 0
	;; [unrolled: 1-line block ×3, first 2 shown]
	s_waitcnt lgkmcnt(0)
	v_lshrrev_b16 v32, 13, v30
	v_mul_u32_u24_sdwa v33, v214, v31 dst_sel:DWORD dst_unused:UNUSED_PAD src0_sel:WORD_0 src1_sel:DWORD
	v_mul_u32_u24_sdwa v34, v215, v31 dst_sel:DWORD dst_unused:UNUSED_PAD src0_sel:WORD_0 src1_sel:DWORD
	v_lshlrev_b64 v[30:31], 4, v[28:29]
	s_barrier
	v_mul_lo_u16 v28, 0x44, v32
	v_lshrrev_b32_e32 v32, 22, v33
	v_lshrrev_b32_e32 v33, 22, v34
	buffer_gl0_inv
	v_add_co_u32 v34, s0, s8, v30
	v_mul_lo_u16 v36, 0x44, v32
	v_add_co_ci_u32_e64 v35, s0, s9, v31, s0
	v_mul_lo_u16 v46, 0x44, v33
	v_sub_nc_u16 v28, v212, v28
	v_sub_nc_u16 v104, v214, v36
	s_clause 0x1
	global_load_dwordx4 v[30:33], v[34:35], off offset:1056
	global_load_dwordx4 v[34:37], v[34:35], off offset:1072
	v_sub_nc_u16 v105, v215, v46
	v_lshlrev_b32_sdwa v50, v47, v28 dst_sel:DWORD dst_unused:UNUSED_PAD src0_sel:DWORD src1_sel:BYTE_0
	v_lshlrev_b32_sdwa v58, v47, v104 dst_sel:DWORD dst_unused:UNUSED_PAD src0_sel:DWORD src1_sel:WORD_0
	v_mov_b32_e32 v106, 3
	s_mov_b32 s0, 0xe8584caa
	v_lshlrev_b32_sdwa v66, v47, v105 dst_sel:DWORD dst_unused:UNUSED_PAD src0_sel:DWORD src1_sel:WORD_0
	s_clause 0x5
	global_load_dwordx4 v[46:49], v50, s[8:9] offset:1056
	global_load_dwordx4 v[50:53], v50, s[8:9] offset:1072
	;; [unrolled: 1-line block ×6, first 2 shown]
	ds_read2_b64 v[70:73], v40 offset0:84 offset1:152
	ds_read2_b64 v[74:77], v41 offset0:100 offset1:168
	ds_read_b64 v[94:95], v158
	ds_read2_b64 v[78:81], v159 offset0:68 offset1:136
	ds_read2_b64 v[82:85], v43 offset0:108 offset1:176
	;; [unrolled: 1-line block ×5, first 2 shown]
	v_lshlrev_b32_sdwa v128, v106, v104 dst_sel:DWORD dst_unused:UNUSED_PAD src0_sel:DWORD src1_sel:WORD_0
	v_lshlrev_b32_sdwa v129, v106, v105 dst_sel:DWORD dst_unused:UNUSED_PAD src0_sel:DWORD src1_sel:WORD_0
	v_lshlrev_b32_sdwa v28, v106, v28 dst_sel:DWORD dst_unused:UNUSED_PAD src0_sel:DWORD src1_sel:BYTE_0
	s_mov_b32 s1, 0xbfebb67a
	s_mov_b32 s5, 0x3febb67a
	;; [unrolled: 1-line block ×3, first 2 shown]
	v_add3_u32 v128, 0, v128, v97
	v_add3_u32 v28, 0, v28, v97
	;; [unrolled: 1-line block ×3, first 2 shown]
	s_waitcnt vmcnt(0) lgkmcnt(0)
	s_barrier
	buffer_gl0_inv
	v_mul_f64 v[104:105], v[70:71], v[32:33]
	v_mul_f64 v[108:109], v[76:77], v[36:37]
	;; [unrolled: 1-line block ×20, first 2 shown]
	v_fma_f64 v[16:17], v[16:17], v[30:31], v[104:105]
	v_fma_f64 v[10:11], v[10:11], v[34:35], v[108:109]
	;; [unrolled: 1-line block ×6, first 2 shown]
	v_fma_f64 v[70:71], v[70:71], v[30:31], -v[106:107]
	v_fma_f64 v[76:77], v[76:77], v[34:35], -v[110:111]
	v_fma_f64 v[26:27], v[26:27], v[54:55], v[120:121]
	v_fma_f64 v[20:21], v[20:21], v[58:59], v[122:123]
	;; [unrolled: 1-line block ×4, first 2 shown]
	v_fma_f64 v[30:31], v[72:73], v[30:31], -v[32:33]
	v_fma_f64 v[32:33], v[82:83], v[34:35], -v[36:37]
	v_fma_f64 v[34:35], v[86:87], v[46:47], -v[48:49]
	v_fma_f64 v[36:37], v[84:85], v[50:51], -v[52:53]
	v_fma_f64 v[46:47], v[88:89], v[54:55], -v[56:57]
	v_fma_f64 v[48:49], v[100:101], v[58:59], -v[60:61]
	v_fma_f64 v[50:51], v[74:75], v[62:63], -v[64:65]
	v_fma_f64 v[52:53], v[102:103], v[66:67], -v[68:69]
	v_add_nc_u32_e32 v110, 0x800, v28
	v_add_nc_u32_e32 v111, 0x1000, v128
	v_add_f64 v[54:55], v[38:39], v[16:17]
	v_add_f64 v[56:57], v[16:17], v[10:11]
	;; [unrolled: 1-line block ×7, first 2 shown]
	v_add_f64 v[58:59], v[70:71], -v[76:77]
	v_add_f64 v[62:63], v[70:71], v[76:77]
	v_add_f64 v[70:71], v[26:27], v[20:21]
	;; [unrolled: 1-line block ×5, first 2 shown]
	v_add_f64 v[72:73], v[30:31], -v[32:33]
	v_add_f64 v[30:31], v[30:31], v[32:33]
	v_add_f64 v[86:87], v[34:35], -v[36:37]
	v_add_f64 v[88:89], v[80:81], v[34:35]
	v_add_f64 v[34:35], v[34:35], v[36:37]
	;; [unrolled: 1-line block ×4, first 2 shown]
	v_add_f64 v[102:103], v[46:47], -v[48:49]
	v_add_f64 v[106:107], v[6:7], v[8:9]
	v_add_f64 v[16:17], v[16:17], -v[10:11]
	v_fma_f64 v[38:39], v[56:57], -0.5, v[38:39]
	v_add_f64 v[56:57], v[50:51], -v[52:53]
	v_fma_f64 v[0:1], v[64:65], -0.5, v[0:1]
	;; [unrolled: 2-line block ×3, first 2 shown]
	v_add_f64 v[24:25], v[24:25], -v[14:15]
	v_add_f64 v[46:47], v[90:91], v[46:47]
	v_add_f64 v[26:27], v[26:27], -v[20:21]
	v_fma_f64 v[4:5], v[70:71], -0.5, v[4:5]
	v_add_f64 v[50:51], v[92:93], v[50:51]
	v_fma_f64 v[6:7], v[74:75], -0.5, v[6:7]
	v_add_f64 v[8:9], v[8:9], -v[22:23]
	v_add_f64 v[10:11], v[54:55], v[10:11]
	v_add_f64 v[54:55], v[60:61], v[76:77]
	v_fma_f64 v[60:61], v[62:63], -0.5, v[94:95]
	v_fma_f64 v[30:31], v[30:31], -0.5, v[78:79]
	;; [unrolled: 1-line block ×5, first 2 shown]
	v_add_f64 v[12:13], v[68:69], v[12:13]
	v_add_f64 v[14:15], v[84:85], v[14:15]
	;; [unrolled: 1-line block ×3, first 2 shown]
	v_fma_f64 v[66:67], v[58:59], s[0:1], v[38:39]
	v_fma_f64 v[38:39], v[58:59], s[4:5], v[38:39]
	;; [unrolled: 1-line block ×6, first 2 shown]
	v_add_f64 v[22:23], v[106:107], v[22:23]
	v_add_nc_u32_e32 v112, 0x1800, v97
	v_fma_f64 v[70:71], v[102:103], s[0:1], v[4:5]
	v_fma_f64 v[4:5], v[102:103], s[4:5], v[4:5]
	;; [unrolled: 1-line block ×4, first 2 shown]
	v_add_f64 v[46:47], v[46:47], v[48:49]
	v_add_f64 v[48:49], v[50:51], v[52:53]
	v_fma_f64 v[50:51], v[16:17], s[4:5], v[60:61]
	v_fma_f64 v[52:53], v[16:17], s[0:1], v[60:61]
	;; [unrolled: 1-line block ×10, first 2 shown]
	ds_write2_b64 v159, v[10:11], v[66:67] offset1:68
	ds_write2_b64 v159, v[38:39], v[12:13] offset0:136 offset1:204
	ds_write2_b64 v40, v[58:59], v[0:1] offset0:16 offset1:84
	;; [unrolled: 1-line block ×3, first 2 shown]
	ds_write_b64 v28, v[2:3] offset:4352
	ds_write2_b64 v111, v[20:21], v[70:71] offset0:100 offset1:168
	ds_write_b64 v128, v[4:5] offset:5984
	ds_write2_b64 v112, v[22:23], v[72:73] offset0:48 offset1:116
	ds_write_b64 v97, v[6:7] offset:7616
	s_waitcnt lgkmcnt(0)
	s_barrier
	buffer_gl0_inv
	ds_read_b64 v[30:31], v158
	ds_read2_b64 v[4:7], v45 offset0:76 offset1:144
	ds_read2_b64 v[12:15], v40 offset0:84 offset1:152
	;; [unrolled: 1-line block ×7, first 2 shown]
	v_add_f64 v[32:33], v[82:83], v[32:33]
	v_add_f64 v[36:37], v[88:89], v[36:37]
	s_waitcnt lgkmcnt(0)
	s_barrier
	buffer_gl0_inv
	ds_write2_b64 v159, v[54:55], v[50:51] offset1:68
	ds_write2_b64 v159, v[52:53], v[32:33] offset0:136 offset1:204
	ds_write2_b64 v40, v[56:57], v[60:61] offset0:16 offset1:84
	;; [unrolled: 1-line block ×3, first 2 shown]
	ds_write_b64 v28, v[34:35] offset:4352
	ds_write2_b64 v111, v[46:47], v[76:77] offset0:100 offset1:168
	ds_write_b64 v128, v[62:63] offset:5984
	ds_write2_b64 v112, v[48:49], v[78:79] offset0:48 offset1:116
	ds_write_b64 v97, v[64:65] offset:7616
	s_waitcnt lgkmcnt(0)
	s_barrier
	buffer_gl0_inv
	s_and_saveexec_b32 s0, vcc_lo
	s_cbranch_execz .LBB0_34
; %bb.33:
	v_lshlrev_b32_e32 v28, 2, v212
	v_mov_b32_e32 v97, v29
	v_mul_hi_u32 v112, 0xa0a0a0a1, v213
	v_add_nc_u32_e32 v88, 0x800, v159
	v_add_nc_u32_e32 v92, 0x1400, v159
	v_lshlrev_b64 v[32:33], 4, v[28:29]
	v_lshlrev_b32_e32 v28, 2, v213
	v_add_nc_u32_e32 v100, 0x1800, v159
	v_mul_hi_u32 v113, 0xa0a0a0a1, v212
	v_add_nc_u32_e32 v102, 0x400, v159
	v_add_nc_u32_e32 v106, 0x1000, v159
	v_add_co_u32 v34, vcc_lo, s8, v32
	v_add_co_ci_u32_e32 v35, vcc_lo, s9, v33, vcc_lo
	v_lshlrev_b64 v[32:33], 4, v[28:29]
	v_add_co_u32 v44, vcc_lo, 0xca0, v34
	v_add_co_ci_u32_e32 v45, vcc_lo, 0, v35, vcc_lo
	v_add_co_u32 v34, vcc_lo, 0x800, v34
	v_add_co_ci_u32_e32 v35, vcc_lo, 0, v35, vcc_lo
	v_add_co_u32 v40, vcc_lo, s8, v32
	v_lshlrev_b32_e32 v28, 2, v96
	v_add_co_ci_u32_e32 v41, vcc_lo, s9, v33, vcc_lo
	v_add_co_u32 v48, vcc_lo, 0x800, v40
	v_lshlrev_b64 v[56:57], 4, v[28:29]
	v_add_co_ci_u32_e32 v49, vcc_lo, 0, v41, vcc_lo
	v_add_co_u32 v60, vcc_lo, 0xca0, v40
	v_add_co_ci_u32_e32 v61, vcc_lo, 0, v41, vcc_lo
	v_add_co_u32 v28, vcc_lo, s8, v56
	v_add_co_ci_u32_e32 v64, vcc_lo, s9, v57, vcc_lo
	s_clause 0x1
	global_load_dwordx4 v[32:35], v[34:35], off offset:1184
	global_load_dwordx4 v[36:39], v[44:45], off offset:48
	v_add_co_u32 v76, vcc_lo, 0xca0, v28
	v_add_co_ci_u32_e32 v77, vcc_lo, 0, v64, vcc_lo
	v_add_co_u32 v68, vcc_lo, 0x800, v28
	v_add_co_ci_u32_e32 v69, vcc_lo, 0, v64, vcc_lo
	s_clause 0x9
	global_load_dwordx4 v[40:43], v[44:45], off offset:32
	global_load_dwordx4 v[44:47], v[44:45], off offset:16
	;; [unrolled: 1-line block ×10, first 2 shown]
	v_lshlrev_b64 v[96:97], 4, v[96:97]
	v_add_co_u32 v128, vcc_lo, s2, v98
	v_add_nc_u32_e32 v28, 0xc00, v159
	v_add_co_ci_u32_e32 v129, vcc_lo, s3, v99, vcc_lo
	v_add_co_u32 v96, vcc_lo, v128, v96
	ds_read2_b64 v[80:83], v159 offset0:68 offset1:136
	ds_read_b64 v[110:111], v158
	ds_read2_b64 v[84:87], v28 offset0:92 offset1:160
	ds_read2_b64 v[88:91], v88 offset0:84 offset1:152
	;; [unrolled: 1-line block ×4, first 2 shown]
	v_lshrrev_b32_e32 v28, 7, v112
	v_add_co_ci_u32_e32 v97, vcc_lo, v129, v97, vcc_lo
	v_add_co_u32 v112, vcc_lo, 0x800, v96
	v_mul_u32_u24_e32 v28, 0x330, v28
	v_lshrrev_b32_e32 v122, 7, v113
	v_add_co_ci_u32_e32 v113, vcc_lo, 0, v97, vcc_lo
	v_add_co_u32 v114, vcc_lo, 0x1800, v96
	v_add_co_ci_u32_e32 v115, vcc_lo, 0, v97, vcc_lo
	v_add_co_u32 v116, vcc_lo, 0x2000, v96
	v_lshlrev_b64 v[118:119], 4, v[28:29]
	ds_read2_b64 v[102:105], v102 offset0:76 offset1:144
	ds_read2_b64 v[106:109], v106 offset0:100 offset1:168
	v_add_co_ci_u32_e32 v117, vcc_lo, 0, v97, vcc_lo
	v_add_co_u32 v120, vcc_lo, 0x3000, v96
	v_add_co_ci_u32_e32 v121, vcc_lo, 0, v97, vcc_lo
	v_add_co_u32 v118, vcc_lo, v96, v118
	v_add_co_ci_u32_e32 v119, vcc_lo, v97, v119, vcc_lo
	v_mad_u32_u24 v28, 0x330, v122, v212
	v_add_co_u32 v122, vcc_lo, 0x1000, v118
	v_add_co_ci_u32_e32 v123, vcc_lo, 0, v119, vcc_lo
	v_lshlrev_b64 v[28:29], 4, v[28:29]
	v_add_co_u32 v124, vcc_lo, 0x1800, v118
	v_add_co_ci_u32_e32 v125, vcc_lo, 0, v119, vcc_lo
	v_add_co_u32 v126, vcc_lo, 0x2800, v118
	v_add_co_ci_u32_e32 v127, vcc_lo, 0, v119, vcc_lo
	;; [unrolled: 2-line block ×3, first 2 shown]
	s_mov_b32 s8, 0x134454ff
	s_mov_b32 s9, 0x3fee6f0e
	s_mov_b32 s11, 0xbfee6f0e
	s_mov_b32 s10, s8
	s_mov_b32 s4, 0x4755a5e
	s_mov_b32 s5, 0xbfe2cf23
	s_mov_b32 s7, 0x3fe2cf23
	s_mov_b32 s6, s4
	s_mov_b32 s0, 0x372fe950
	s_mov_b32 s1, 0x3fd3c6ef
	v_add_co_u32 v130, vcc_lo, 0x3000, v118
	v_add_co_ci_u32_e32 v131, vcc_lo, 0, v119, vcc_lo
	v_add_co_u32 v132, vcc_lo, 0x800, v128
	v_add_co_ci_u32_e32 v133, vcc_lo, 0, v129, vcc_lo
	s_waitcnt vmcnt(11)
	v_mul_f64 v[134:135], v[12:13], v[34:35]
	s_waitcnt vmcnt(10)
	v_mul_f64 v[138:139], v[22:23], v[38:39]
	s_waitcnt lgkmcnt(4)
	v_mul_f64 v[34:35], v[88:89], v[34:35]
	s_waitcnt lgkmcnt(2)
	v_mul_f64 v[38:39], v[100:101], v[38:39]
	s_waitcnt vmcnt(9)
	v_mul_f64 v[136:137], v[8:9], v[42:43]
	s_waitcnt vmcnt(8)
	v_mul_f64 v[28:29], v[26:27], v[46:47]
	v_mul_f64 v[46:47], v[86:87], v[46:47]
	;; [unrolled: 1-line block ×3, first 2 shown]
	s_waitcnt vmcnt(4)
	v_mul_f64 v[140:141], v[24:25], v[62:63]
	v_mul_f64 v[142:143], v[6:7], v[50:51]
	v_mul_f64 v[144:145], v[18:19], v[58:59]
	v_mul_f64 v[146:147], v[20:21], v[54:55]
	v_mul_f64 v[62:63], v[84:85], v[62:63]
	s_waitcnt lgkmcnt(0)
	v_mul_f64 v[58:59], v[108:109], v[58:59]
	v_mul_f64 v[50:51], v[104:105], v[50:51]
	;; [unrolled: 1-line block ×3, first 2 shown]
	s_waitcnt vmcnt(3)
	v_mul_f64 v[148:149], v[14:15], v[66:67]
	s_waitcnt vmcnt(2)
	v_mul_f64 v[150:151], v[4:5], v[70:71]
	;; [unrolled: 2-line block ×4, first 2 shown]
	v_mul_f64 v[66:67], v[90:91], v[66:67]
	v_mul_f64 v[74:75], v[106:107], v[74:75]
	v_mul_f64 v[70:71], v[102:103], v[70:71]
	v_mul_f64 v[78:79], v[94:95], v[78:79]
	v_fma_f64 v[12:13], v[12:13], v[32:33], v[34:35]
	v_fma_f64 v[22:23], v[22:23], v[36:37], v[38:39]
	v_fma_f64 v[28:29], v[86:87], v[44:45], -v[28:29]
	v_fma_f64 v[86:87], v[88:89], v[32:33], -v[134:135]
	;; [unrolled: 1-line block ×4, first 2 shown]
	v_fma_f64 v[26:27], v[26:27], v[44:45], v[46:47]
	v_fma_f64 v[8:9], v[8:9], v[40:41], v[42:43]
	v_fma_f64 v[32:33], v[84:85], v[60:61], -v[140:141]
	v_fma_f64 v[34:35], v[104:105], v[48:49], -v[142:143]
	;; [unrolled: 1-line block ×3, first 2 shown]
	v_fma_f64 v[24:25], v[24:25], v[60:61], v[62:63]
	v_fma_f64 v[18:19], v[18:19], v[56:57], v[58:59]
	;; [unrolled: 1-line block ×4, first 2 shown]
	v_fma_f64 v[38:39], v[98:99], v[52:53], -v[146:147]
	v_fma_f64 v[40:41], v[90:91], v[64:65], -v[148:149]
	;; [unrolled: 1-line block ×3, first 2 shown]
	v_fma_f64 v[14:15], v[14:15], v[64:65], v[66:67]
	v_fma_f64 v[16:17], v[16:17], v[72:73], v[74:75]
	;; [unrolled: 1-line block ×4, first 2 shown]
	v_fma_f64 v[42:43], v[102:103], v[68:69], -v[150:151]
	v_fma_f64 v[46:47], v[94:95], v[76:77], -v[154:155]
	v_add_f64 v[72:73], v[12:13], v[22:23]
	v_add_f64 v[10:11], v[28:29], -v[86:87]
	v_add_f64 v[58:59], v[86:87], -v[28:29]
	;; [unrolled: 1-line block ×3, first 2 shown]
	v_add_f64 v[54:55], v[86:87], v[92:93]
	v_add_f64 v[60:61], v[92:93], -v[88:89]
	v_add_f64 v[62:63], v[28:29], v[88:89]
	v_add_f64 v[64:65], v[86:87], v[82:83]
	v_add_f64 v[76:77], v[12:13], -v[26:27]
	v_add_f64 v[78:79], v[22:23], -v[8:9]
	v_add_f64 v[108:109], v[32:33], v[36:37]
	v_add_f64 v[134:135], v[34:35], v[80:81]
	;; [unrolled: 1-line block ×4, first 2 shown]
	v_add_f64 v[56:57], v[12:13], -v[22:23]
	v_add_f64 v[66:67], v[26:27], -v[12:13]
	;; [unrolled: 1-line block ×4, first 2 shown]
	v_add_f64 v[12:13], v[2:3], v[12:13]
	v_add_f64 v[86:87], v[32:33], -v[34:35]
	v_add_f64 v[90:91], v[36:37], -v[38:39]
	v_add_f64 v[98:99], v[34:35], v[38:39]
	v_add_f64 v[164:165], v[40:41], v[44:45]
	;; [unrolled: 1-line block ×7, first 2 shown]
	v_add_f64 v[158:159], v[4:5], -v[48:49]
	v_add_f64 v[168:169], v[14:15], -v[4:5]
	;; [unrolled: 1-line block ×3, first 2 shown]
	v_add_f64 v[4:5], v[30:31], v[4:5]
	v_add_f64 v[74:75], v[28:29], -v[88:89]
	v_add_f64 v[102:103], v[6:7], -v[20:21]
	;; [unrolled: 1-line block ×9, first 2 shown]
	v_add_f64 v[6:7], v[0:1], v[6:7]
	v_add_f64 v[50:51], v[10:11], v[50:51]
	v_fma_f64 v[10:11], v[54:55], -0.5, v[82:83]
	v_add_f64 v[54:55], v[58:59], v[60:61]
	v_fma_f64 v[58:59], v[62:63], -0.5, v[82:83]
	;; [unrolled: 2-line block ×5, first 2 shown]
	v_fma_f64 v[0:1], v[148:149], -0.5, v[0:1]
	v_add_f64 v[52:53], v[26:27], -v[8:9]
	v_add_f64 v[94:95], v[24:25], -v[18:19]
	;; [unrolled: 1-line block ×6, first 2 shown]
	v_add_f64 v[60:61], v[66:67], v[68:69]
	v_add_f64 v[12:13], v[26:27], v[12:13]
	;; [unrolled: 1-line block ×3, first 2 shown]
	v_fma_f64 v[26:27], v[98:99], -0.5, v[80:81]
	v_fma_f64 v[86:87], v[164:165], -0.5, v[110:111]
	;; [unrolled: 1-line block ×4, first 2 shown]
	v_add_f64 v[154:155], v[14:15], -v[16:17]
	v_add_f64 v[174:175], v[40:41], -v[44:45]
	v_fma_f64 v[82:83], v[156:157], -0.5, v[110:111]
	v_add_f64 v[40:41], v[40:41], v[166:167]
	v_fma_f64 v[2:3], v[84:85], -0.5, v[2:3]
	v_add_f64 v[4:5], v[14:15], v[4:5]
	v_add_f64 v[68:69], v[104:105], v[106:107]
	;; [unrolled: 1-line block ×4, first 2 shown]
	v_fma_f64 v[106:107], v[56:57], s[10:11], v[58:59]
	v_fma_f64 v[58:59], v[56:57], s[8:9], v[58:59]
	v_fma_f64 v[134:135], v[102:103], s[10:11], v[72:73]
	v_add_f64 v[32:33], v[36:37], v[32:33]
	v_fma_f64 v[136:137], v[34:35], s[8:9], v[0:1]
	v_add_f64 v[162:163], v[46:47], -v[44:45]
	v_add_f64 v[178:179], v[48:49], -v[16:17]
	v_add_f64 v[80:81], v[144:145], v[146:147]
	v_add_f64 v[28:29], v[88:89], v[28:29]
	;; [unrolled: 1-line block ×3, first 2 shown]
	v_fma_f64 v[12:13], v[94:95], s[8:9], v[26:27]
	v_fma_f64 v[26:27], v[94:95], s[10:11], v[26:27]
	;; [unrolled: 1-line block ×6, first 2 shown]
	v_add_f64 v[152:153], v[44:45], -v[46:47]
	v_add_f64 v[170:171], v[16:17], -v[48:49]
	v_fma_f64 v[140:141], v[154:155], s[8:9], v[82:83]
	v_fma_f64 v[82:83], v[154:155], s[10:11], v[82:83]
	v_add_f64 v[40:41], v[44:45], v[40:41]
	v_fma_f64 v[44:45], v[174:175], s[10:11], v[98:99]
	v_fma_f64 v[98:99], v[174:175], s[8:9], v[98:99]
	;; [unrolled: 1-line block ×12, first 2 shown]
	v_add_f64 v[16:17], v[4:5], v[16:17]
	v_add_f64 v[18:19], v[6:7], v[18:19]
	v_fma_f64 v[106:107], v[52:53], s[4:5], v[106:107]
	v_fma_f64 v[52:53], v[52:53], s[6:7], v[58:59]
	;; [unrolled: 1-line block ×3, first 2 shown]
	v_add_f64 v[6:7], v[38:39], v[32:33]
	v_fma_f64 v[32:33], v[142:143], s[6:7], v[136:137]
	v_add_f64 v[84:85], v[160:161], v[162:163]
	v_add_f64 v[104:105], v[176:177], v[178:179]
	;; [unrolled: 1-line block ×3, first 2 shown]
	v_fma_f64 v[12:13], v[102:103], s[4:5], v[12:13]
	v_fma_f64 v[28:29], v[102:103], s[6:7], v[26:27]
	;; [unrolled: 1-line block ×4, first 2 shown]
	v_add_f64 v[24:25], v[150:151], v[152:153]
	v_add_f64 v[90:91], v[168:169], v[170:171]
	v_fma_f64 v[82:83], v[158:159], s[6:7], v[82:83]
	v_fma_f64 v[98:99], v[42:43], s[4:5], v[98:99]
	;; [unrolled: 1-line block ×16, first 2 shown]
	v_add_f64 v[0:1], v[8:9], v[22:23]
	v_add_f64 v[10:11], v[46:47], v[40:41]
	;; [unrolled: 1-line block ×3, first 2 shown]
	v_fma_f64 v[38:39], v[68:69], s[0:1], v[58:59]
	v_fma_f64 v[36:37], v[80:81], s[0:1], v[32:33]
	;; [unrolled: 1-line block ×10, first 2 shown]
	v_add_f64 v[4:5], v[18:19], v[20:21]
	v_fma_f64 v[14:15], v[50:51], s[0:1], v[14:15]
	v_fma_f64 v[18:19], v[50:51], s[0:1], v[56:57]
	;; [unrolled: 1-line block ×13, first 2 shown]
	v_add_co_u32 v100, vcc_lo, 0x1800, v128
	v_fma_f64 v[20:21], v[64:65], s[0:1], v[70:71]
	v_add_co_ci_u32_e32 v101, vcc_lo, 0, v129, vcc_lo
	v_add_co_u32 v60, vcc_lo, 0x2000, v128
	v_add_co_ci_u32_e32 v61, vcc_lo, 0, v129, vcc_lo
	v_add_co_u32 v62, vcc_lo, 0x3000, v128
	v_add_co_ci_u32_e32 v63, vcc_lo, 0, v129, vcc_lo
	global_store_dwordx4 v[96:97], v[8:11], off
	global_store_dwordx4 v[130:131], v[36:39], off offset:1856
	global_store_dwordx4 v[112:113], v[52:55], off offset:1216
	;; [unrolled: 1-line block ×9, first 2 shown]
	global_store_dwordx4 v[128:129], v[0:3], off
	global_store_dwordx4 v[132:133], v[24:27], off offset:1216
	global_store_dwordx4 v[100:101], v[16:19], off offset:384
	;; [unrolled: 1-line block ×4, first 2 shown]
.LBB0_34:
	s_endpgm
	.section	.rodata,"a",@progbits
	.p2align	6, 0x0
	.amdhsa_kernel fft_rtc_back_len1020_factors_2_17_2_3_5_wgs_204_tpt_68_halfLds_dp_ip_CI_unitstride_sbrr_dirReg
		.amdhsa_group_segment_fixed_size 0
		.amdhsa_private_segment_fixed_size 0
		.amdhsa_kernarg_size 88
		.amdhsa_user_sgpr_count 6
		.amdhsa_user_sgpr_private_segment_buffer 1
		.amdhsa_user_sgpr_dispatch_ptr 0
		.amdhsa_user_sgpr_queue_ptr 0
		.amdhsa_user_sgpr_kernarg_segment_ptr 1
		.amdhsa_user_sgpr_dispatch_id 0
		.amdhsa_user_sgpr_flat_scratch_init 0
		.amdhsa_user_sgpr_private_segment_size 0
		.amdhsa_wavefront_size32 1
		.amdhsa_uses_dynamic_stack 0
		.amdhsa_system_sgpr_private_segment_wavefront_offset 0
		.amdhsa_system_sgpr_workgroup_id_x 1
		.amdhsa_system_sgpr_workgroup_id_y 0
		.amdhsa_system_sgpr_workgroup_id_z 0
		.amdhsa_system_sgpr_workgroup_info 0
		.amdhsa_system_vgpr_workitem_id 0
		.amdhsa_next_free_vgpr 236
		.amdhsa_next_free_sgpr 56
		.amdhsa_reserve_vcc 1
		.amdhsa_reserve_flat_scratch 0
		.amdhsa_float_round_mode_32 0
		.amdhsa_float_round_mode_16_64 0
		.amdhsa_float_denorm_mode_32 3
		.amdhsa_float_denorm_mode_16_64 3
		.amdhsa_dx10_clamp 1
		.amdhsa_ieee_mode 1
		.amdhsa_fp16_overflow 0
		.amdhsa_workgroup_processor_mode 1
		.amdhsa_memory_ordered 1
		.amdhsa_forward_progress 0
		.amdhsa_shared_vgpr_count 0
		.amdhsa_exception_fp_ieee_invalid_op 0
		.amdhsa_exception_fp_denorm_src 0
		.amdhsa_exception_fp_ieee_div_zero 0
		.amdhsa_exception_fp_ieee_overflow 0
		.amdhsa_exception_fp_ieee_underflow 0
		.amdhsa_exception_fp_ieee_inexact 0
		.amdhsa_exception_int_div_zero 0
	.end_amdhsa_kernel
	.text
.Lfunc_end0:
	.size	fft_rtc_back_len1020_factors_2_17_2_3_5_wgs_204_tpt_68_halfLds_dp_ip_CI_unitstride_sbrr_dirReg, .Lfunc_end0-fft_rtc_back_len1020_factors_2_17_2_3_5_wgs_204_tpt_68_halfLds_dp_ip_CI_unitstride_sbrr_dirReg
                                        ; -- End function
	.section	.AMDGPU.csdata,"",@progbits
; Kernel info:
; codeLenInByte = 16280
; NumSgprs: 58
; NumVgprs: 236
; ScratchSize: 0
; MemoryBound: 1
; FloatMode: 240
; IeeeMode: 1
; LDSByteSize: 0 bytes/workgroup (compile time only)
; SGPRBlocks: 7
; VGPRBlocks: 29
; NumSGPRsForWavesPerEU: 58
; NumVGPRsForWavesPerEU: 236
; Occupancy: 4
; WaveLimiterHint : 1
; COMPUTE_PGM_RSRC2:SCRATCH_EN: 0
; COMPUTE_PGM_RSRC2:USER_SGPR: 6
; COMPUTE_PGM_RSRC2:TRAP_HANDLER: 0
; COMPUTE_PGM_RSRC2:TGID_X_EN: 1
; COMPUTE_PGM_RSRC2:TGID_Y_EN: 0
; COMPUTE_PGM_RSRC2:TGID_Z_EN: 0
; COMPUTE_PGM_RSRC2:TIDIG_COMP_CNT: 0
	.text
	.p2alignl 6, 3214868480
	.fill 48, 4, 3214868480
	.type	__hip_cuid_389558cb29a83eb,@object ; @__hip_cuid_389558cb29a83eb
	.section	.bss,"aw",@nobits
	.globl	__hip_cuid_389558cb29a83eb
__hip_cuid_389558cb29a83eb:
	.byte	0                               ; 0x0
	.size	__hip_cuid_389558cb29a83eb, 1

	.ident	"AMD clang version 19.0.0git (https://github.com/RadeonOpenCompute/llvm-project roc-6.4.0 25133 c7fe45cf4b819c5991fe208aaa96edf142730f1d)"
	.section	".note.GNU-stack","",@progbits
	.addrsig
	.addrsig_sym __hip_cuid_389558cb29a83eb
	.amdgpu_metadata
---
amdhsa.kernels:
  - .args:
      - .actual_access:  read_only
        .address_space:  global
        .offset:         0
        .size:           8
        .value_kind:     global_buffer
      - .offset:         8
        .size:           8
        .value_kind:     by_value
      - .actual_access:  read_only
        .address_space:  global
        .offset:         16
        .size:           8
        .value_kind:     global_buffer
      - .actual_access:  read_only
        .address_space:  global
        .offset:         24
        .size:           8
        .value_kind:     global_buffer
      - .offset:         32
        .size:           8
        .value_kind:     by_value
      - .actual_access:  read_only
        .address_space:  global
        .offset:         40
        .size:           8
        .value_kind:     global_buffer
      - .actual_access:  read_only
        .address_space:  global
        .offset:         48
        .size:           8
        .value_kind:     global_buffer
      - .offset:         56
        .size:           4
        .value_kind:     by_value
      - .actual_access:  read_only
        .address_space:  global
        .offset:         64
        .size:           8
        .value_kind:     global_buffer
      - .actual_access:  read_only
        .address_space:  global
        .offset:         72
        .size:           8
        .value_kind:     global_buffer
      - .address_space:  global
        .offset:         80
        .size:           8
        .value_kind:     global_buffer
    .group_segment_fixed_size: 0
    .kernarg_segment_align: 8
    .kernarg_segment_size: 88
    .language:       OpenCL C
    .language_version:
      - 2
      - 0
    .max_flat_workgroup_size: 204
    .name:           fft_rtc_back_len1020_factors_2_17_2_3_5_wgs_204_tpt_68_halfLds_dp_ip_CI_unitstride_sbrr_dirReg
    .private_segment_fixed_size: 0
    .sgpr_count:     58
    .sgpr_spill_count: 0
    .symbol:         fft_rtc_back_len1020_factors_2_17_2_3_5_wgs_204_tpt_68_halfLds_dp_ip_CI_unitstride_sbrr_dirReg.kd
    .uniform_work_group_size: 1
    .uses_dynamic_stack: false
    .vgpr_count:     236
    .vgpr_spill_count: 0
    .wavefront_size: 32
    .workgroup_processor_mode: 1
amdhsa.target:   amdgcn-amd-amdhsa--gfx1030
amdhsa.version:
  - 1
  - 2
...

	.end_amdgpu_metadata
